;; amdgpu-corpus repo=ROCm/rocFFT kind=compiled arch=gfx906 opt=O3
	.text
	.amdgcn_target "amdgcn-amd-amdhsa--gfx906"
	.amdhsa_code_object_version 6
	.protected	fft_rtc_back_len595_factors_7_17_5_wgs_51_tpt_17_halfLds_half_ip_CI_unitstride_sbrr_dirReg ; -- Begin function fft_rtc_back_len595_factors_7_17_5_wgs_51_tpt_17_halfLds_half_ip_CI_unitstride_sbrr_dirReg
	.globl	fft_rtc_back_len595_factors_7_17_5_wgs_51_tpt_17_halfLds_half_ip_CI_unitstride_sbrr_dirReg
	.p2align	8
	.type	fft_rtc_back_len595_factors_7_17_5_wgs_51_tpt_17_halfLds_half_ip_CI_unitstride_sbrr_dirReg,@function
fft_rtc_back_len595_factors_7_17_5_wgs_51_tpt_17_halfLds_half_ip_CI_unitstride_sbrr_dirReg: ; @fft_rtc_back_len595_factors_7_17_5_wgs_51_tpt_17_halfLds_half_ip_CI_unitstride_sbrr_dirReg
; %bb.0:
	s_load_dwordx2 s[2:3], s[4:5], 0x50
	s_load_dwordx4 s[8:11], s[4:5], 0x0
	s_load_dwordx2 s[12:13], s[4:5], 0x18
	v_mul_u32_u24_e32 v1, 0xf10, v0
	v_lshrrev_b32_e32 v1, 16, v1
	v_mad_u64_u32 v[1:2], s[0:1], s6, 3, v[1:2]
	v_mov_b32_e32 v5, 0
	s_waitcnt lgkmcnt(0)
	v_cmp_lt_u64_e64 s[0:1], s[10:11], 2
	v_mov_b32_e32 v2, v5
	v_mov_b32_e32 v3, 0
	;; [unrolled: 1-line block ×3, first 2 shown]
	s_and_b64 vcc, exec, s[0:1]
	v_mov_b32_e32 v4, 0
	v_mov_b32_e32 v9, v1
	s_cbranch_vccnz .LBB0_8
; %bb.1:
	s_load_dwordx2 s[0:1], s[4:5], 0x10
	s_add_u32 s6, s12, 8
	s_addc_u32 s7, s13, 0
	v_mov_b32_e32 v3, 0
	v_mov_b32_e32 v8, v2
	s_waitcnt lgkmcnt(0)
	s_add_u32 s16, s0, 8
	s_mov_b64 s[14:15], 1
	v_mov_b32_e32 v4, 0
	s_addc_u32 s17, s1, 0
	v_mov_b32_e32 v7, v1
.LBB0_2:                                ; =>This Inner Loop Header: Depth=1
	s_load_dwordx2 s[18:19], s[16:17], 0x0
                                        ; implicit-def: $vgpr9_vgpr10
	s_waitcnt lgkmcnt(0)
	v_or_b32_e32 v6, s19, v8
	v_cmp_ne_u64_e32 vcc, 0, v[5:6]
	s_and_saveexec_b64 s[0:1], vcc
	s_xor_b64 s[20:21], exec, s[0:1]
	s_cbranch_execz .LBB0_4
; %bb.3:                                ;   in Loop: Header=BB0_2 Depth=1
	v_cvt_f32_u32_e32 v2, s18
	v_cvt_f32_u32_e32 v6, s19
	s_sub_u32 s0, 0, s18
	s_subb_u32 s1, 0, s19
	v_mac_f32_e32 v2, 0x4f800000, v6
	v_rcp_f32_e32 v2, v2
	v_mul_f32_e32 v2, 0x5f7ffffc, v2
	v_mul_f32_e32 v6, 0x2f800000, v2
	v_trunc_f32_e32 v6, v6
	v_mac_f32_e32 v2, 0xcf800000, v6
	v_cvt_u32_f32_e32 v6, v6
	v_cvt_u32_f32_e32 v2, v2
	v_mul_lo_u32 v9, s0, v6
	v_mul_hi_u32 v10, s0, v2
	v_mul_lo_u32 v12, s1, v2
	v_mul_lo_u32 v11, s0, v2
	v_add_u32_e32 v9, v10, v9
	v_add_u32_e32 v9, v9, v12
	v_mul_hi_u32 v10, v2, v11
	v_mul_lo_u32 v12, v2, v9
	v_mul_hi_u32 v14, v2, v9
	v_mul_hi_u32 v13, v6, v11
	v_mul_lo_u32 v11, v6, v11
	v_mul_hi_u32 v15, v6, v9
	v_add_co_u32_e32 v10, vcc, v10, v12
	v_addc_co_u32_e32 v12, vcc, 0, v14, vcc
	v_mul_lo_u32 v9, v6, v9
	v_add_co_u32_e32 v10, vcc, v10, v11
	v_addc_co_u32_e32 v10, vcc, v12, v13, vcc
	v_addc_co_u32_e32 v11, vcc, 0, v15, vcc
	v_add_co_u32_e32 v9, vcc, v10, v9
	v_addc_co_u32_e32 v10, vcc, 0, v11, vcc
	v_add_co_u32_e32 v2, vcc, v2, v9
	v_addc_co_u32_e32 v6, vcc, v6, v10, vcc
	v_mul_lo_u32 v9, s0, v6
	v_mul_hi_u32 v10, s0, v2
	v_mul_lo_u32 v11, s1, v2
	v_mul_lo_u32 v12, s0, v2
	v_add_u32_e32 v9, v10, v9
	v_add_u32_e32 v9, v9, v11
	v_mul_lo_u32 v13, v2, v9
	v_mul_hi_u32 v14, v2, v12
	v_mul_hi_u32 v15, v2, v9
	;; [unrolled: 1-line block ×3, first 2 shown]
	v_mul_lo_u32 v12, v6, v12
	v_mul_hi_u32 v10, v6, v9
	v_add_co_u32_e32 v13, vcc, v14, v13
	v_addc_co_u32_e32 v14, vcc, 0, v15, vcc
	v_mul_lo_u32 v9, v6, v9
	v_add_co_u32_e32 v12, vcc, v13, v12
	v_addc_co_u32_e32 v11, vcc, v14, v11, vcc
	v_addc_co_u32_e32 v10, vcc, 0, v10, vcc
	v_add_co_u32_e32 v9, vcc, v11, v9
	v_addc_co_u32_e32 v10, vcc, 0, v10, vcc
	v_add_co_u32_e32 v2, vcc, v2, v9
	v_addc_co_u32_e32 v6, vcc, v6, v10, vcc
	v_mad_u64_u32 v[9:10], s[0:1], v7, v6, 0
	v_mul_hi_u32 v11, v7, v2
	v_add_co_u32_e32 v13, vcc, v11, v9
	v_addc_co_u32_e32 v14, vcc, 0, v10, vcc
	v_mad_u64_u32 v[9:10], s[0:1], v8, v2, 0
	v_mad_u64_u32 v[11:12], s[0:1], v8, v6, 0
	v_add_co_u32_e32 v2, vcc, v13, v9
	v_addc_co_u32_e32 v2, vcc, v14, v10, vcc
	v_addc_co_u32_e32 v6, vcc, 0, v12, vcc
	v_add_co_u32_e32 v2, vcc, v2, v11
	v_addc_co_u32_e32 v6, vcc, 0, v6, vcc
	v_mul_lo_u32 v11, s19, v2
	v_mul_lo_u32 v12, s18, v6
	v_mad_u64_u32 v[9:10], s[0:1], s18, v2, 0
	v_add3_u32 v10, v10, v12, v11
	v_sub_u32_e32 v11, v8, v10
	v_mov_b32_e32 v12, s19
	v_sub_co_u32_e32 v9, vcc, v7, v9
	v_subb_co_u32_e64 v11, s[0:1], v11, v12, vcc
	v_subrev_co_u32_e64 v12, s[0:1], s18, v9
	v_subbrev_co_u32_e64 v11, s[0:1], 0, v11, s[0:1]
	v_cmp_le_u32_e64 s[0:1], s19, v11
	v_cndmask_b32_e64 v13, 0, -1, s[0:1]
	v_cmp_le_u32_e64 s[0:1], s18, v12
	v_cndmask_b32_e64 v12, 0, -1, s[0:1]
	v_cmp_eq_u32_e64 s[0:1], s19, v11
	v_cndmask_b32_e64 v11, v13, v12, s[0:1]
	v_add_co_u32_e64 v12, s[0:1], 2, v2
	v_addc_co_u32_e64 v13, s[0:1], 0, v6, s[0:1]
	v_add_co_u32_e64 v14, s[0:1], 1, v2
	v_addc_co_u32_e64 v15, s[0:1], 0, v6, s[0:1]
	v_subb_co_u32_e32 v10, vcc, v8, v10, vcc
	v_cmp_ne_u32_e64 s[0:1], 0, v11
	v_cmp_le_u32_e32 vcc, s19, v10
	v_cndmask_b32_e64 v11, v15, v13, s[0:1]
	v_cndmask_b32_e64 v13, 0, -1, vcc
	v_cmp_le_u32_e32 vcc, s18, v9
	v_cndmask_b32_e64 v9, 0, -1, vcc
	v_cmp_eq_u32_e32 vcc, s19, v10
	v_cndmask_b32_e32 v9, v13, v9, vcc
	v_cmp_ne_u32_e32 vcc, 0, v9
	v_cndmask_b32_e32 v10, v6, v11, vcc
	v_cndmask_b32_e64 v6, v14, v12, s[0:1]
	v_cndmask_b32_e32 v9, v2, v6, vcc
.LBB0_4:                                ;   in Loop: Header=BB0_2 Depth=1
	s_andn2_saveexec_b64 s[0:1], s[20:21]
	s_cbranch_execz .LBB0_6
; %bb.5:                                ;   in Loop: Header=BB0_2 Depth=1
	v_cvt_f32_u32_e32 v2, s18
	s_sub_i32 s20, 0, s18
	v_rcp_iflag_f32_e32 v2, v2
	v_mul_f32_e32 v2, 0x4f7ffffe, v2
	v_cvt_u32_f32_e32 v2, v2
	v_mul_lo_u32 v6, s20, v2
	v_mul_hi_u32 v6, v2, v6
	v_add_u32_e32 v2, v2, v6
	v_mul_hi_u32 v2, v7, v2
	v_mul_lo_u32 v6, v2, s18
	v_add_u32_e32 v9, 1, v2
	v_sub_u32_e32 v6, v7, v6
	v_subrev_u32_e32 v10, s18, v6
	v_cmp_le_u32_e32 vcc, s18, v6
	v_cndmask_b32_e32 v6, v6, v10, vcc
	v_cndmask_b32_e32 v2, v2, v9, vcc
	v_add_u32_e32 v9, 1, v2
	v_cmp_le_u32_e32 vcc, s18, v6
	v_cndmask_b32_e32 v9, v2, v9, vcc
	v_mov_b32_e32 v10, v5
.LBB0_6:                                ;   in Loop: Header=BB0_2 Depth=1
	s_or_b64 exec, exec, s[0:1]
	v_mul_lo_u32 v2, v10, s18
	v_mul_lo_u32 v6, v9, s19
	v_mad_u64_u32 v[11:12], s[0:1], v9, s18, 0
	s_load_dwordx2 s[0:1], s[6:7], 0x0
	s_add_u32 s14, s14, 1
	v_add3_u32 v2, v12, v6, v2
	v_sub_co_u32_e32 v6, vcc, v7, v11
	v_subb_co_u32_e32 v2, vcc, v8, v2, vcc
	s_waitcnt lgkmcnt(0)
	v_mul_lo_u32 v2, s0, v2
	v_mul_lo_u32 v7, s1, v6
	v_mad_u64_u32 v[3:4], s[0:1], s0, v6, v[3:4]
	s_addc_u32 s15, s15, 0
	s_add_u32 s6, s6, 8
	v_add3_u32 v4, v7, v4, v2
	v_mov_b32_e32 v6, s10
	v_mov_b32_e32 v7, s11
	s_addc_u32 s7, s7, 0
	v_cmp_ge_u64_e32 vcc, s[14:15], v[6:7]
	s_add_u32 s16, s16, 8
	s_addc_u32 s17, s17, 0
	s_cbranch_vccnz .LBB0_8
; %bb.7:                                ;   in Loop: Header=BB0_2 Depth=1
	v_mov_b32_e32 v7, v9
	v_mov_b32_e32 v8, v10
	s_branch .LBB0_2
.LBB0_8:
	s_lshl_b64 s[0:1], s[10:11], 3
	s_add_u32 s0, s12, s0
	s_addc_u32 s1, s13, s1
	s_load_dwordx2 s[6:7], s[0:1], 0x0
	s_load_dwordx2 s[10:11], s[4:5], 0x20
	v_mov_b32_e32 v77, 0
	v_mov_b32_e32 v66, 0
	;; [unrolled: 1-line block ×3, first 2 shown]
	s_waitcnt lgkmcnt(0)
	v_mad_u64_u32 v[2:3], s[0:1], s6, v9, v[3:4]
	v_mul_lo_u32 v5, s6, v10
	v_mul_lo_u32 v6, s7, v9
	s_mov_b32 s0, 0xf0f0f10
	v_mul_hi_u32 v4, v0, s0
	v_cmp_gt_u64_e32 vcc, s[10:11], v[9:10]
	v_add3_u32 v3, v6, v3, v5
	v_lshlrev_b64 v[6:7], 2, v[2:3]
	v_mul_u32_u24_e32 v4, 17, v4
	v_sub_u32_e32 v4, v0, v4
	v_mov_b32_e32 v62, 0
	v_mov_b32_e32 v70, 0
	;; [unrolled: 1-line block ×17, first 2 shown]
                                        ; implicit-def: $vgpr84
                                        ; implicit-def: $vgpr72
                                        ; implicit-def: $vgpr85
                                        ; implicit-def: $vgpr74
                                        ; implicit-def: $vgpr81
                                        ; implicit-def: $vgpr86
                                        ; implicit-def: $vgpr76
                                        ; implicit-def: $vgpr87
                                        ; implicit-def: $vgpr73
                                        ; implicit-def: $vgpr88
                                        ; implicit-def: $vgpr89
                                        ; implicit-def: $vgpr93
                                        ; implicit-def: $vgpr75
                                        ; implicit-def: $vgpr78
                                        ; implicit-def: $vgpr68
                                        ; implicit-def: $vgpr69
                                        ; implicit-def: $vgpr64
                                        ; implicit-def: $vgpr65
                                        ; implicit-def: $vgpr12
                                        ; implicit-def: $vgpr42
	s_and_saveexec_b64 s[4:5], vcc
	s_cbranch_execz .LBB0_10
; %bb.9:
	v_mov_b32_e32 v5, 0
	v_mov_b32_e32 v0, s3
	v_add_co_u32_e64 v8, s[0:1], s2, v6
	v_lshlrev_b64 v[2:3], 2, v[4:5]
	v_addc_co_u32_e64 v0, s[0:1], v0, v7, s[0:1]
	v_add_co_u32_e64 v12, s[0:1], v8, v2
	v_addc_co_u32_e64 v13, s[0:1], v0, v3, s[0:1]
	global_load_dword v14, v[12:13], off offset:1020
	global_load_dword v70, v[12:13], off offset:476
	global_load_dword v66, v[12:13], off
	global_load_dword v62, v[12:13], off offset:68
	global_load_dword v11, v[12:13], off offset:136
	;; [unrolled: 1-line block ×32, first 2 shown]
	s_mov_b32 s0, 0x5040100
	s_mov_b32 s1, 0x7060302
	s_waitcnt vmcnt(20)
	v_lshrrev_b32_e32 v84, 16, v18
	s_waitcnt vmcnt(19)
	v_lshrrev_b32_e32 v88, 16, v19
	;; [unrolled: 2-line block ×4, first 2 shown]
	v_perm_b32 v89, v18, v14, s0
	s_waitcnt vmcnt(15)
	v_perm_b32 v93, v72, v14, s1
	s_waitcnt vmcnt(14)
	v_lshrrev_b32_e32 v86, 16, v22
	v_perm_b32 v75, v19, v15, s0
	v_perm_b32 v78, v73, v15, s1
	;; [unrolled: 1-line block ×3, first 2 shown]
	s_waitcnt vmcnt(13)
	v_perm_b32 v69, v74, v16, s1
	v_perm_b32 v64, v21, v17, s0
	s_waitcnt vmcnt(12)
	v_perm_b32 v65, v76, v17, s1
	s_waitcnt vmcnt(2)
	;; [unrolled: 2-line block ×3, first 2 shown]
	v_perm_b32 v42, v81, v23, s1
.LBB0_10:
	s_or_b64 exec, exec, s[4:5]
	s_mov_b32 s0, 0xaaaaaaab
	v_mul_hi_u32 v13, v1, s0
	s_mov_b32 s1, 0x5040100
	v_perm_b32 v95, v92, v0, s1
	v_add_f16_e32 v14, v72, v77
	v_lshrrev_b32_e32 v13, 1, v13
	v_lshl_add_u32 v13, v13, 1, v13
	v_sub_u32_e32 v16, v1, v13
	v_pk_add_f16 v1, v89, v95
	v_add_f16_sdwa v13, v14, v1 dst_sel:DWORD dst_unused:UNUSED_PAD src0_sel:DWORD src1_sel:WORD_1
	v_sub_f16_e32 v17, v14, v1
	v_alignbit_b32 v14, v14, v1, 16
	s_mov_b32 s5, 0x7060302
	v_pk_add_f16 v14, v1, v14 neg_lo:[0,1] neg_hi:[0,1]
	v_add_f16_e32 v13, v13, v1
	v_perm_b32 v1, v77, v0, s5
	v_sub_f16_sdwa v0, v92, v84 dst_sel:DWORD dst_unused:UNUSED_PAD src0_sel:WORD_1 src1_sel:DWORD
	v_pk_add_f16 v15, v1, v93 neg_lo:[0,1] neg_hi:[0,1]
	v_pack_b32_f16 v18, v0, v15
	v_add_f16_e32 v19, v0, v15
	s_mov_b32 s0, 0x39e02b26
	v_pk_add_f16 v18, v15, v18 neg_lo:[0,1] neg_hi:[0,1]
	v_sub_f16_sdwa v0, v0, v15 dst_sel:DWORD dst_unused:UNUSED_PAD src0_sel:DWORD src1_sel:WORD_1
	v_add_f16_sdwa v19, v15, v19 dst_sel:DWORD dst_unused:UNUSED_PAD src0_sel:WORD_1 src1_sel:DWORD
	v_pk_mul_f16 v20, v14, s0
	v_mul_f16_e32 v15, 0xba52, v17
	v_alignbit_b32 v15, v15, v20, 16
	s_mov_b32 s4, 0xb5743846
	v_mul_f16_e32 v0, 0xbb00, v0
	s_mov_b32 s6, 0xbcab
	v_add_f16_e32 v21, v13, v66
	v_pk_fma_f16 v14, v14, s0, v15 neg_lo:[1,0,0] neg_hi:[1,0,0]
	v_pk_fma_f16 v0, v18, s4, v0 op_sel_hi:[1,1,0] neg_lo:[1,0,0] neg_hi:[1,0,1]
	v_mul_f16_e32 v15, 0xb70e, v19
	v_fma_f16 v13, v13, s6, v21
	v_pk_add_f16 v0, v0, v15 op_sel_hi:[1,0]
	v_pk_add_f16 v14, v14, v13 op_sel_hi:[1,0]
	v_pk_add_f16 v22, v14, v0
	v_pk_add_f16 v0, v14, v0 neg_lo:[0,1] neg_hi:[0,1]
	s_mov_b32 s11, 0xffff
	s_movk_i32 s10, 0x3a52
	v_bfi_b32 v15, s11, v22, v0
	v_alignbit_b32 v14, v0, v22, 16
	v_fma_f16 v0, v17, s10, v20
	v_add_f16_e32 v17, v0, v13
	v_pk_mul_f16 v0, v18, s4
	s_mov_b32 s7, 0xb70e
	v_add_f16_sdwa v0, v0, v0 dst_sel:DWORD dst_unused:UNUSED_PAD src0_sel:WORD_1 src1_sel:DWORD
	v_fma_f16 v18, v19, s7, v0
	v_add_f16_e32 v0, v17, v18
	v_pack_b32_f16 v13, v21, v0
	v_mul_u32_u24_e32 v0, 0x253, v16
	v_lshlrev_b32_e32 v0, 1, v0
	v_add_u32_e32 v63, 0, v0
	v_mad_u32_u24 v94, v4, 14, v63
	v_perm_b32 v96, v91, v10, s1
	ds_write_b96 v94, v[13:15]
	v_add_f16_e32 v13, v73, v82
	v_pk_add_f16 v14, v75, v96
	v_add_f16_sdwa v15, v13, v14 dst_sel:DWORD dst_unused:UNUSED_PAD src0_sel:DWORD src1_sel:WORD_1
	v_sub_f16_e32 v16, v13, v14
	v_alignbit_b32 v13, v13, v14, 16
	v_perm_b32 v97, v82, v10, s5
	v_pk_add_f16 v13, v14, v13 neg_lo:[0,1] neg_hi:[0,1]
	v_add_f16_e32 v14, v15, v14
	v_sub_f16_sdwa v10, v91, v88 dst_sel:DWORD dst_unused:UNUSED_PAD src0_sel:WORD_1 src1_sel:DWORD
	v_pk_add_f16 v15, v97, v78 neg_lo:[0,1] neg_hi:[0,1]
	v_pack_b32_f16 v19, v10, v15
	v_add_f16_e32 v20, v10, v15
	v_pk_add_f16 v19, v15, v19 neg_lo:[0,1] neg_hi:[0,1]
	v_sub_f16_sdwa v10, v10, v15 dst_sel:DWORD dst_unused:UNUSED_PAD src0_sel:DWORD src1_sel:WORD_1
	v_add_f16_sdwa v20, v15, v20 dst_sel:DWORD dst_unused:UNUSED_PAD src0_sel:WORD_1 src1_sel:DWORD
	v_mul_f16_e32 v15, 0xba52, v16
	v_pk_mul_f16 v21, v13, s0
	v_alignbit_b32 v15, v15, v21, 16
	v_mul_f16_e32 v10, 0xbb00, v10
	v_add_f16_e32 v22, v14, v62
	v_pk_fma_f16 v13, v13, s0, v15 neg_lo:[1,0,0] neg_hi:[1,0,0]
	v_pk_fma_f16 v10, v19, s4, v10 op_sel_hi:[1,1,0] neg_lo:[1,0,0] neg_hi:[1,0,1]
	v_mul_f16_e32 v15, 0xb70e, v20
	v_fma_f16 v23, v14, s6, v22
	v_pk_add_f16 v10, v10, v15 op_sel_hi:[1,0]
	v_pk_add_f16 v13, v13, v23 op_sel_hi:[1,0]
	v_pk_add_f16 v14, v13, v10
	v_pk_add_f16 v10, v13, v10 neg_lo:[0,1] neg_hi:[0,1]
	v_bfi_b32 v15, s11, v14, v10
	v_alignbit_b32 v14, v10, v14, 16
	v_fma_f16 v10, v16, s10, v21
	v_add_f16_e32 v16, v10, v23
	v_pk_mul_f16 v10, v19, s4
	v_add_f16_sdwa v10, v10, v10 dst_sel:DWORD dst_unused:UNUSED_PAD src0_sel:WORD_1 src1_sel:DWORD
	v_fma_f16 v19, v20, s7, v10
	v_add_f16_e32 v10, v16, v19
	v_pack_b32_f16 v13, v22, v10
	v_perm_b32 v98, v79, v9, s1
	ds_write_b96 v94, v[13:15] offset:238
	v_add_f16_e32 v10, v74, v70
	v_pk_add_f16 v13, v68, v98
	v_add_f16_sdwa v14, v10, v13 dst_sel:DWORD dst_unused:UNUSED_PAD src0_sel:DWORD src1_sel:WORD_1
	v_sub_f16_e32 v20, v10, v13
	v_alignbit_b32 v10, v10, v13, 16
	v_perm_b32 v99, v70, v9, s5
	v_pk_add_f16 v10, v13, v10 neg_lo:[0,1] neg_hi:[0,1]
	v_add_f16_e32 v13, v14, v13
	v_sub_f16_sdwa v9, v79, v85 dst_sel:DWORD dst_unused:UNUSED_PAD src0_sel:WORD_1 src1_sel:DWORD
	v_pk_add_f16 v14, v99, v69 neg_lo:[0,1] neg_hi:[0,1]
	v_pack_b32_f16 v15, v9, v14
	v_pk_add_f16 v21, v14, v15 neg_lo:[0,1] neg_hi:[0,1]
	v_add_f16_e32 v15, v9, v14
	v_sub_f16_sdwa v9, v9, v14 dst_sel:DWORD dst_unused:UNUSED_PAD src0_sel:DWORD src1_sel:WORD_1
	v_add_f16_sdwa v22, v14, v15 dst_sel:DWORD dst_unused:UNUSED_PAD src0_sel:WORD_1 src1_sel:DWORD
	v_mul_f16_e32 v14, 0xba52, v20
	v_pk_mul_f16 v23, v10, s0
	v_alignbit_b32 v14, v14, v23, 16
	v_mul_f16_e32 v9, 0xbb00, v9
	v_add_f16_e32 v24, v13, v11
	v_pk_fma_f16 v10, v10, s0, v14 neg_lo:[1,0,0] neg_hi:[1,0,0]
	v_pk_fma_f16 v9, v21, s4, v9 op_sel_hi:[1,1,0] neg_lo:[1,0,0] neg_hi:[1,0,1]
	v_mul_f16_e32 v14, 0xb70e, v22
	v_fma_f16 v13, v13, s6, v24
	v_pk_add_f16 v9, v9, v14 op_sel_hi:[1,0]
	v_pk_add_f16 v10, v10, v13 op_sel_hi:[1,0]
	v_pk_add_f16 v14, v10, v9
	v_pk_add_f16 v9, v10, v9 neg_lo:[0,1] neg_hi:[0,1]
	v_bfi_b32 v15, s11, v14, v9
	v_alignbit_b32 v14, v9, v14, 16
	v_fma_f16 v9, v20, s10, v23
	v_add_f16_e32 v20, v9, v13
	v_pk_mul_f16 v9, v21, s4
	v_add_f16_sdwa v9, v9, v9 dst_sel:DWORD dst_unused:UNUSED_PAD src0_sel:WORD_1 src1_sel:DWORD
	v_fma_f16 v21, v22, s7, v9
	v_add_f16_e32 v9, v20, v21
	v_perm_b32 v100, v80, v8, s1
	v_pack_b32_f16 v13, v24, v9
	v_add_f16_e32 v9, v76, v71
	v_pk_add_f16 v10, v64, v100
	ds_write_b96 v94, v[13:15] offset:476
	v_add_f16_sdwa v13, v9, v10 dst_sel:DWORD dst_unused:UNUSED_PAD src0_sel:DWORD src1_sel:WORD_1
	v_sub_f16_e32 v14, v9, v10
	v_alignbit_b32 v9, v9, v10, 16
	v_perm_b32 v101, v71, v8, s5
	v_pk_add_f16 v9, v10, v9 neg_lo:[0,1] neg_hi:[0,1]
	v_add_f16_e32 v10, v13, v10
	v_sub_f16_sdwa v8, v80, v87 dst_sel:DWORD dst_unused:UNUSED_PAD src0_sel:WORD_1 src1_sel:DWORD
	v_pk_add_f16 v13, v101, v65 neg_lo:[0,1] neg_hi:[0,1]
	v_pack_b32_f16 v15, v8, v13
	v_add_f16_e32 v22, v8, v13
	v_pk_add_f16 v15, v13, v15 neg_lo:[0,1] neg_hi:[0,1]
	v_sub_f16_sdwa v8, v8, v13 dst_sel:DWORD dst_unused:UNUSED_PAD src0_sel:DWORD src1_sel:WORD_1
	v_add_f16_sdwa v13, v13, v22 dst_sel:DWORD dst_unused:UNUSED_PAD src0_sel:WORD_1 src1_sel:DWORD
	v_mul_f16_e32 v22, 0xba52, v14
	v_pk_mul_f16 v23, v9, s0
	v_alignbit_b32 v22, v22, v23, 16
	v_mul_f16_e32 v8, 0xbb00, v8
	v_pk_fma_f16 v9, v9, s0, v22 neg_lo:[1,0,0] neg_hi:[1,0,0]
	v_pk_fma_f16 v8, v15, s4, v8 op_sel_hi:[1,1,0] neg_lo:[1,0,0] neg_hi:[1,0,1]
	v_mul_f16_e32 v22, 0xb70e, v13
	v_pk_add_f16 v8, v8, v22 op_sel_hi:[1,0]
	v_add_f16_e32 v22, v10, v3
	v_fma_f16 v24, v10, s6, v22
	v_pk_add_f16 v9, v9, v24 op_sel_hi:[1,0]
	v_pk_add_f16 v25, v9, v8
	v_pk_add_f16 v8, v9, v8 neg_lo:[0,1] neg_hi:[0,1]
	v_bfi_b32 v10, s11, v25, v8
	v_alignbit_b32 v9, v8, v25, 16
	v_fma_f16 v8, v14, s10, v23
	v_add_f16_e32 v23, v8, v24
	v_pk_mul_f16 v8, v15, s4
	v_add_f16_sdwa v8, v8, v8 dst_sel:DWORD dst_unused:UNUSED_PAD src0_sel:WORD_1 src1_sel:DWORD
	v_fma_f16 v24, v13, s7, v8
	v_add_f16_e32 v8, v23, v24
	v_pack_b32_f16 v8, v22, v8
	s_waitcnt vmcnt(0)
	v_perm_b32 v102, v90, v5, s1
	ds_write_b96 v94, v[8:10] offset:714
	v_add_f16_e32 v8, v81, v83
	v_pk_add_f16 v9, v12, v102
	v_add_f16_sdwa v10, v8, v9 dst_sel:DWORD dst_unused:UNUSED_PAD src0_sel:DWORD src1_sel:WORD_1
	v_sub_f16_e32 v13, v8, v9
	v_alignbit_b32 v8, v8, v9, 16
	v_perm_b32 v103, v83, v5, s5
	v_pk_add_f16 v8, v9, v8 neg_lo:[0,1] neg_hi:[0,1]
	v_add_f16_e32 v9, v10, v9
	v_sub_f16_sdwa v5, v90, v86 dst_sel:DWORD dst_unused:UNUSED_PAD src0_sel:WORD_1 src1_sel:DWORD
	v_pk_add_f16 v10, v103, v42 neg_lo:[0,1] neg_hi:[0,1]
	v_pack_b32_f16 v14, v5, v10
	v_add_f16_e32 v15, v5, v10
	v_pk_add_f16 v14, v10, v14 neg_lo:[0,1] neg_hi:[0,1]
	v_sub_f16_sdwa v5, v5, v10 dst_sel:DWORD dst_unused:UNUSED_PAD src0_sel:DWORD src1_sel:WORD_1
	v_add_f16_sdwa v10, v10, v15 dst_sel:DWORD dst_unused:UNUSED_PAD src0_sel:WORD_1 src1_sel:DWORD
	v_mul_f16_e32 v15, 0xba52, v13
	v_pk_mul_f16 v22, v8, s0
	v_fma_f16 v13, v13, s10, v22
	v_alignbit_b32 v15, v15, v22, 16
	v_add_f16_e32 v22, v9, v2
	v_pk_fma_f16 v8, v8, s0, v15 neg_lo:[1,0,0] neg_hi:[1,0,0]
	v_fma_f16 v9, v9, s6, v22
	v_add_f16_e32 v13, v13, v9
	v_pk_add_f16 v8, v8, v9 op_sel_hi:[1,0]
	v_pk_mul_f16 v9, v14, s4
	v_mul_f16_e32 v5, 0xbb00, v5
	v_add_f16_sdwa v9, v9, v9 dst_sel:DWORD dst_unused:UNUSED_PAD src0_sel:WORD_1 src1_sel:DWORD
	v_pk_fma_f16 v5, v14, s4, v5 op_sel_hi:[1,1,0] neg_lo:[1,0,0] neg_hi:[1,0,1]
	v_fma_f16 v9, v10, s7, v9
	v_mul_f16_e32 v10, 0xb70e, v10
	v_pk_add_f16 v5, v5, v10 op_sel_hi:[1,0]
	v_pk_add_f16 v10, v8, v5
	v_pk_add_f16 v5, v8, v5 neg_lo:[0,1] neg_hi:[0,1]
	v_add_f16_e32 v14, v13, v9
	v_sub_f16_e32 v8, v13, v9
	v_bfi_b32 v13, s11, v14, v10
	v_pack_b32_f16 v14, v5, v10
	v_alignbit_b32 v15, v8, v5, 16
	v_sub_f16_e32 v5, v17, v18
	ds_write_b16 v94, v5 offset:12
	v_sub_f16_e32 v5, v16, v19
	ds_write_b16 v94, v5 offset:250
	;; [unrolled: 2-line block ×3, first 2 shown]
	v_sub_f16_e32 v5, v23, v24
	v_lshlrev_b32_e32 v9, 1, v4
	ds_write_b96 v94, v[13:15] offset:954
	ds_write_b16 v94, v5 offset:726
	ds_write_b16 v94, v22 offset:952
	v_add_u32_e32 v5, v63, v9
	s_waitcnt lgkmcnt(0)
	; wave barrier
	s_waitcnt lgkmcnt(0)
	v_add3_u32 v10, 0, v9, v0
	ds_read_u16 v67, v5
	ds_read_u16 v61, v10 offset:34
	ds_read_u16 v53, v10 offset:70
	;; [unrolled: 1-line block ×33, first 2 shown]
	s_mov_b32 s11, 0xbb00
	v_cmp_eq_u32_e64 s[0:1], 0, v4
	v_add_u32_e32 v107, 0xee, v94
	v_add_u32_e32 v106, 0x1dc, v94
	;; [unrolled: 1-line block ×4, first 2 shown]
                                        ; implicit-def: $vgpr25
                                        ; implicit-def: $vgpr24
                                        ; implicit-def: $vgpr21
                                        ; implicit-def: $vgpr18
                                        ; implicit-def: $vgpr16
                                        ; implicit-def: $vgpr14
                                        ; implicit-def: $vgpr9
                                        ; implicit-def: $vgpr13
                                        ; implicit-def: $vgpr44
                                        ; implicit-def: $vgpr41
                                        ; implicit-def: $vgpr37
                                        ; implicit-def: $vgpr33
                                        ; implicit-def: $vgpr29
                                        ; implicit-def: $vgpr23
                                        ; implicit-def: $vgpr19
                                        ; implicit-def: $vgpr15
	s_and_saveexec_b64 s[4:5], s[0:1]
	s_cbranch_execz .LBB0_12
; %bb.11:
	ds_read_u16 v8, v63 offset:68
	ds_read_u16 v25, v63 offset:138
	;; [unrolled: 1-line block ×17, first 2 shown]
.LBB0_12:
	s_or_b64 exec, exec, s[4:5]
	v_sub_f16_e32 v72, v77, v72
	v_add_f16_sdwa v77, v84, v92 dst_sel:DWORD dst_unused:UNUSED_PAD src0_sel:DWORD src1_sel:WORD_1
	v_pk_add_f16 v1, v93, v1
	v_sub_f16_e32 v70, v70, v74
	v_add_f16_sdwa v74, v85, v79 dst_sel:DWORD dst_unused:UNUSED_PAD src0_sel:DWORD src1_sel:WORD_1
	v_sub_f16_e32 v79, v83, v81
	v_pk_add_f16 v81, v95, v89 neg_lo:[0,1] neg_hi:[0,1]
	v_add_f16_sdwa v83, v1, v77 dst_sel:DWORD dst_unused:UNUSED_PAD src0_sel:WORD_1 src1_sel:DWORD
	v_sub_f16_e32 v73, v82, v73
	v_add_f16_sdwa v82, v88, v91 dst_sel:DWORD dst_unused:UNUSED_PAD src0_sel:DWORD src1_sel:WORD_1
	v_sub_f16_e32 v71, v71, v76
	v_add_f16_sdwa v76, v87, v80 dst_sel:DWORD dst_unused:UNUSED_PAD src0_sel:DWORD src1_sel:WORD_1
	v_add_f16_sdwa v80, v86, v90 dst_sel:DWORD dst_unused:UNUSED_PAD src0_sel:DWORD src1_sel:WORD_1
	v_sub_f16_sdwa v84, v77, v1 dst_sel:DWORD dst_unused:UNUSED_PAD src0_sel:DWORD src1_sel:WORD_1
	v_sub_f16_sdwa v85, v1, v1 dst_sel:DWORD dst_unused:UNUSED_PAD src0_sel:WORD_1 src1_sel:DWORD
	v_sub_f16_e32 v77, v1, v77
	v_add_f16_sdwa v86, v81, v81 dst_sel:DWORD dst_unused:UNUSED_PAD src0_sel:WORD_1 src1_sel:DWORD
	v_sub_f16_sdwa v87, v81, v81 dst_sel:DWORD dst_unused:UNUSED_PAD src0_sel:DWORD src1_sel:WORD_1
	v_sub_f16_e32 v88, v72, v81
	v_sub_f16_sdwa v81, v81, v72 dst_sel:DWORD dst_unused:UNUSED_PAD src0_sel:WORD_1 src1_sel:DWORD
	v_add_f16_e32 v1, v83, v1
	v_add_f16_e32 v72, v72, v86
	v_add_f16_sdwa v83, v1, v66 dst_sel:DWORD dst_unused:UNUSED_PAD src0_sel:DWORD src1_sel:WORD_1
	v_mul_f16_e32 v66, 0x3a52, v85
	v_mul_f16_e32 v77, 0x2b26, v77
	;; [unrolled: 1-line block ×4, first 2 shown]
	s_movk_i32 s4, 0x39e0
	s_mov_b32 s5, 0xb9e0
	s_mov_b32 s12, 0xb574
	s_movk_i32 s13, 0x3574
	v_fma_f16 v1, v1, s6, v83
	v_fma_f16 v85, v85, s10, v77
	v_fma_f16 v77, v84, s4, -v77
	v_fma_f16 v66, v84, s5, -v66
	v_fma_f16 v84, v88, s12, v86
	v_fma_f16 v81, v81, s11, -v86
	v_fma_f16 v86, v88, s13, -v87
	v_add_f16_e32 v85, v85, v1
	v_add_f16_e32 v77, v77, v1
	;; [unrolled: 1-line block ×3, first 2 shown]
	v_fma_f16 v66, v72, s7, v84
	v_fma_f16 v81, v72, s7, v81
	;; [unrolled: 1-line block ×3, first 2 shown]
	v_sub_f16_e32 v86, v1, v72
	v_add_f16_e32 v72, v72, v1
	v_pk_add_f16 v1, v78, v97
	v_sub_f16_e32 v84, v85, v66
	v_add_f16_e32 v87, v81, v77
	v_sub_f16_e32 v77, v77, v81
	v_add_f16_e32 v81, v66, v85
	v_pk_add_f16 v66, v96, v75 neg_lo:[0,1] neg_hi:[0,1]
	v_add_f16_sdwa v75, v1, v82 dst_sel:DWORD dst_unused:UNUSED_PAD src0_sel:WORD_1 src1_sel:DWORD
	v_sub_f16_sdwa v78, v82, v1 dst_sel:DWORD dst_unused:UNUSED_PAD src0_sel:DWORD src1_sel:WORD_1
	v_sub_f16_sdwa v85, v1, v1 dst_sel:DWORD dst_unused:UNUSED_PAD src0_sel:WORD_1 src1_sel:DWORD
	v_sub_f16_e32 v82, v1, v82
	v_add_f16_sdwa v88, v66, v66 dst_sel:DWORD dst_unused:UNUSED_PAD src0_sel:WORD_1 src1_sel:DWORD
	v_sub_f16_sdwa v89, v66, v66 dst_sel:DWORD dst_unused:UNUSED_PAD src0_sel:DWORD src1_sel:WORD_1
	v_sub_f16_e32 v90, v73, v66
	v_sub_f16_sdwa v66, v66, v73 dst_sel:DWORD dst_unused:UNUSED_PAD src0_sel:WORD_1 src1_sel:DWORD
	v_add_f16_e32 v1, v75, v1
	v_add_f16_e32 v73, v73, v88
	v_add_f16_sdwa v62, v1, v62 dst_sel:DWORD dst_unused:UNUSED_PAD src0_sel:DWORD src1_sel:WORD_1
	v_mul_f16_e32 v75, 0x3a52, v85
	v_mul_f16_e32 v82, 0x2b26, v82
	;; [unrolled: 1-line block ×4, first 2 shown]
	v_fma_f16 v1, v1, s6, v62
	v_fma_f16 v85, v85, s10, v82
	v_fma_f16 v82, v78, s4, -v82
	v_fma_f16 v75, v78, s5, -v75
	v_fma_f16 v78, v90, s12, v88
	v_fma_f16 v66, v66, s11, -v88
	v_fma_f16 v88, v90, s13, -v89
	v_add_f16_e32 v85, v85, v1
	v_add_f16_e32 v82, v82, v1
	;; [unrolled: 1-line block ×3, first 2 shown]
	v_fma_f16 v75, v73, s7, v78
	v_fma_f16 v66, v73, s7, v66
	;; [unrolled: 1-line block ×3, first 2 shown]
	v_sub_f16_e32 v88, v1, v73
	v_add_f16_e32 v73, v73, v1
	v_pk_add_f16 v1, v69, v99
	v_add_f16_e32 v89, v66, v82
	v_sub_f16_e32 v82, v82, v66
	v_pk_add_f16 v66, v98, v68 neg_lo:[0,1] neg_hi:[0,1]
	v_add_f16_sdwa v68, v1, v74 dst_sel:DWORD dst_unused:UNUSED_PAD src0_sel:WORD_1 src1_sel:DWORD
	v_sub_f16_e32 v78, v85, v75
	v_add_f16_e32 v75, v75, v85
	v_sub_f16_sdwa v69, v74, v1 dst_sel:DWORD dst_unused:UNUSED_PAD src0_sel:DWORD src1_sel:WORD_1
	v_sub_f16_sdwa v85, v1, v1 dst_sel:DWORD dst_unused:UNUSED_PAD src0_sel:WORD_1 src1_sel:DWORD
	v_sub_f16_e32 v74, v1, v74
	v_add_f16_sdwa v90, v66, v66 dst_sel:DWORD dst_unused:UNUSED_PAD src0_sel:WORD_1 src1_sel:DWORD
	v_sub_f16_sdwa v91, v66, v66 dst_sel:DWORD dst_unused:UNUSED_PAD src0_sel:DWORD src1_sel:WORD_1
	v_sub_f16_e32 v92, v70, v66
	v_sub_f16_sdwa v66, v66, v70 dst_sel:DWORD dst_unused:UNUSED_PAD src0_sel:WORD_1 src1_sel:DWORD
	v_add_f16_e32 v1, v68, v1
	v_add_f16_e32 v68, v70, v90
	v_add_f16_sdwa v11, v1, v11 dst_sel:DWORD dst_unused:UNUSED_PAD src0_sel:DWORD src1_sel:WORD_1
	v_mul_f16_e32 v70, 0x3a52, v85
	v_mul_f16_e32 v74, 0x2b26, v74
	;; [unrolled: 1-line block ×4, first 2 shown]
	v_fma_f16 v1, v1, s6, v11
	v_fma_f16 v85, v85, s10, v74
	v_fma_f16 v74, v69, s4, -v74
	v_fma_f16 v69, v69, s5, -v70
	v_fma_f16 v70, v92, s12, v90
	v_fma_f16 v66, v66, s11, -v90
	v_fma_f16 v90, v92, s13, -v91
	v_add_f16_e32 v85, v85, v1
	v_add_f16_e32 v74, v74, v1
	;; [unrolled: 1-line block ×3, first 2 shown]
	v_fma_f16 v69, v68, s7, v70
	v_fma_f16 v66, v68, s7, v66
	;; [unrolled: 1-line block ×3, first 2 shown]
	v_sub_f16_e32 v90, v1, v68
	v_add_f16_e32 v68, v68, v1
	v_pk_add_f16 v1, v65, v101
	v_pk_add_f16 v64, v100, v64 neg_lo:[0,1] neg_hi:[0,1]
	v_add_f16_sdwa v65, v1, v76 dst_sel:DWORD dst_unused:UNUSED_PAD src0_sel:WORD_1 src1_sel:DWORD
	v_sub_f16_e32 v70, v85, v69
	v_add_f16_e32 v91, v66, v74
	v_sub_f16_e32 v74, v74, v66
	v_add_f16_e32 v69, v69, v85
	v_sub_f16_sdwa v66, v76, v1 dst_sel:DWORD dst_unused:UNUSED_PAD src0_sel:DWORD src1_sel:WORD_1
	v_sub_f16_sdwa v85, v1, v1 dst_sel:DWORD dst_unused:UNUSED_PAD src0_sel:WORD_1 src1_sel:DWORD
	v_sub_f16_e32 v76, v1, v76
	v_add_f16_sdwa v92, v64, v64 dst_sel:DWORD dst_unused:UNUSED_PAD src0_sel:WORD_1 src1_sel:DWORD
	v_sub_f16_sdwa v93, v64, v64 dst_sel:DWORD dst_unused:UNUSED_PAD src0_sel:DWORD src1_sel:WORD_1
	v_sub_f16_e32 v95, v71, v64
	v_sub_f16_sdwa v64, v64, v71 dst_sel:DWORD dst_unused:UNUSED_PAD src0_sel:WORD_1 src1_sel:DWORD
	v_add_f16_e32 v1, v65, v1
	v_add_f16_e32 v65, v71, v92
	v_add_f16_sdwa v3, v1, v3 dst_sel:DWORD dst_unused:UNUSED_PAD src0_sel:DWORD src1_sel:WORD_1
	v_mul_f16_e32 v71, 0x3a52, v85
	v_mul_f16_e32 v76, 0x2b26, v76
	;; [unrolled: 1-line block ×4, first 2 shown]
	v_fma_f16 v1, v1, s6, v3
	v_fma_f16 v85, v85, s10, v76
	v_fma_f16 v76, v66, s4, -v76
	v_fma_f16 v66, v66, s5, -v71
	v_fma_f16 v71, v95, s12, v92
	v_fma_f16 v64, v64, s11, -v92
	v_fma_f16 v92, v95, s13, -v93
	v_add_f16_e32 v85, v85, v1
	v_add_f16_e32 v76, v76, v1
	;; [unrolled: 1-line block ×3, first 2 shown]
	v_fma_f16 v66, v65, s7, v71
	v_fma_f16 v64, v65, s7, v64
	;; [unrolled: 1-line block ×3, first 2 shown]
	v_sub_f16_e32 v92, v1, v65
	v_add_f16_e32 v95, v65, v1
	v_pk_add_f16 v1, v42, v103
	v_pk_add_f16 v12, v102, v12 neg_lo:[0,1] neg_hi:[0,1]
	v_add_f16_sdwa v42, v1, v80 dst_sel:DWORD dst_unused:UNUSED_PAD src0_sel:WORD_1 src1_sel:DWORD
	v_sub_f16_e32 v71, v85, v66
	v_add_f16_e32 v93, v64, v76
	v_sub_f16_e32 v76, v76, v64
	v_add_f16_e32 v85, v66, v85
	v_sub_f16_sdwa v64, v80, v1 dst_sel:DWORD dst_unused:UNUSED_PAD src0_sel:DWORD src1_sel:WORD_1
	v_sub_f16_sdwa v65, v1, v1 dst_sel:DWORD dst_unused:UNUSED_PAD src0_sel:WORD_1 src1_sel:DWORD
	v_sub_f16_e32 v66, v1, v80
	v_add_f16_sdwa v80, v12, v12 dst_sel:DWORD dst_unused:UNUSED_PAD src0_sel:WORD_1 src1_sel:DWORD
	v_sub_f16_sdwa v96, v12, v12 dst_sel:DWORD dst_unused:UNUSED_PAD src0_sel:DWORD src1_sel:WORD_1
	v_sub_f16_e32 v97, v79, v12
	v_sub_f16_sdwa v12, v12, v79 dst_sel:DWORD dst_unused:UNUSED_PAD src0_sel:WORD_1 src1_sel:DWORD
	v_add_f16_e32 v1, v42, v1
	v_add_f16_e32 v42, v79, v80
	v_add_f16_sdwa v2, v1, v2 dst_sel:DWORD dst_unused:UNUSED_PAD src0_sel:DWORD src1_sel:WORD_1
	v_mul_f16_e32 v79, 0x3a52, v65
	v_mul_f16_e32 v66, 0x2b26, v66
	v_mul_f16_e32 v80, 0x3846, v96
	v_mul_f16_e32 v96, 0xbb00, v12
	v_fma_f16 v1, v1, s6, v2
	v_fma_f16 v65, v65, s10, v66
	v_fma_f16 v66, v64, s4, -v66
	v_fma_f16 v64, v64, s5, -v79
	v_fma_f16 v79, v97, s12, v80
	v_fma_f16 v12, v12, s11, -v80
	v_fma_f16 v80, v97, s13, -v96
	v_add_f16_e32 v65, v65, v1
	v_add_f16_e32 v66, v66, v1
	;; [unrolled: 1-line block ×3, first 2 shown]
	v_fma_f16 v64, v42, s7, v79
	v_fma_f16 v12, v42, s7, v12
	v_fma_f16 v42, v42, s7, v80
	v_sub_f16_e32 v79, v65, v64
	v_sub_f16_e32 v80, v1, v42
	v_add_f16_e32 v96, v12, v66
	v_sub_f16_e32 v12, v66, v12
	v_add_f16_e32 v42, v42, v1
	v_add_f16_e32 v1, v64, v65
	v_pack_b32_f16 v66, v77, v72
	v_pack_b32_f16 v65, v86, v87
	v_pack_b32_f16 v64, v83, v84
	s_waitcnt lgkmcnt(0)
	; wave barrier
	s_waitcnt lgkmcnt(0)
	ds_write_b96 v94, v[64:66]
	ds_write_b16 v94, v81 offset:12
	v_pack_b32_f16 v66, v82, v73
	v_pack_b32_f16 v65, v88, v89
	v_pack_b32_f16 v64, v62, v78
	ds_write_b96 v107, v[64:66]
	ds_write_b16 v107, v75 offset:12
	v_pack_b32_f16 v66, v74, v68
	v_pack_b32_f16 v65, v90, v91
	v_pack_b32_f16 v64, v11, v70
	;; [unrolled: 5-line block ×3, first 2 shown]
	ds_write_b96 v105, v[64:66]
	ds_write_b16 v105, v85 offset:12
	ds_write_b16 v104, v2
	v_pack_b32_f16 v66, v42, v1
	v_pack_b32_f16 v65, v96, v12
	v_pack_b32_f16 v64, v79, v80
	ds_write_b96 v104, v[64:66] offset:2
	s_waitcnt lgkmcnt(0)
	; wave barrier
	s_waitcnt lgkmcnt(0)
	ds_read_u16 v42, v5
	ds_read_u16 v3, v10 offset:34
	ds_read_u16 v71, v10 offset:70
	;; [unrolled: 1-line block ×33, first 2 shown]
                                        ; implicit-def: $vgpr130
                                        ; implicit-def: $vgpr129
                                        ; implicit-def: $vgpr128
                                        ; implicit-def: $vgpr127
                                        ; implicit-def: $vgpr126
                                        ; implicit-def: $vgpr125
                                        ; implicit-def: $vgpr123
                                        ; implicit-def: $vgpr122
                                        ; implicit-def: $vgpr115
                                        ; implicit-def: $vgpr116
                                        ; implicit-def: $vgpr117
                                        ; implicit-def: $vgpr118
                                        ; implicit-def: $vgpr119
                                        ; implicit-def: $vgpr120
                                        ; implicit-def: $vgpr121
                                        ; implicit-def: $vgpr124
	s_and_saveexec_b64 s[4:5], s[0:1]
	s_cbranch_execz .LBB0_14
; %bb.13:
	ds_read_u16 v1, v63 offset:68
	ds_read_u16 v130, v63 offset:138
	;; [unrolled: 1-line block ×17, first 2 shown]
.LBB0_14:
	s_or_b64 exec, exec, s[4:5]
	v_mov_b32_e32 v2, 37
	v_mul_lo_u16_sdwa v11, v4, v2 dst_sel:DWORD dst_unused:UNUSED_PAD src0_sel:BYTE_0 src1_sel:DWORD
	v_sub_u16_sdwa v12, v4, v11 dst_sel:DWORD dst_unused:UNUSED_PAD src0_sel:DWORD src1_sel:BYTE_1
	v_lshrrev_b16_e32 v12, 1, v12
	v_and_b32_e32 v12, 0x7f, v12
	v_add_u16_sdwa v11, v12, v11 dst_sel:DWORD dst_unused:UNUSED_PAD src0_sel:DWORD src1_sel:BYTE_1
	v_lshrrev_b16_e32 v111, 2, v11
	v_mul_lo_u16_e32 v11, 7, v111
	v_sub_u16_e32 v112, v4, v11
	v_mov_b32_e32 v63, 6
	v_lshlrev_b32_sdwa v11, v63, v112 dst_sel:DWORD dst_unused:UNUSED_PAD src0_sel:DWORD src1_sel:BYTE_0
	v_add_u32_e32 v12, 17, v4
	global_load_dwordx4 v[89:92], v11, s[8:9]
	global_load_dwordx4 v[135:138], v11, s[8:9] offset:16
	global_load_dwordx4 v[139:142], v11, s[8:9] offset:32
	;; [unrolled: 1-line block ×3, first 2 shown]
	v_mul_lo_u16_sdwa v11, v12, v2 dst_sel:DWORD dst_unused:UNUSED_PAD src0_sel:BYTE_0 src1_sel:DWORD
	v_sub_u16_sdwa v83, v12, v11 dst_sel:DWORD dst_unused:UNUSED_PAD src0_sel:DWORD src1_sel:BYTE_1
	v_lshrrev_b16_e32 v83, 1, v83
	v_and_b32_e32 v83, 0x7f, v83
	v_add_u16_sdwa v11, v83, v11 dst_sel:DWORD dst_unused:UNUSED_PAD src0_sel:DWORD src1_sel:BYTE_1
	v_lshrrev_b16_e32 v113, 2, v11
	v_mul_lo_u16_e32 v11, 7, v113
	v_sub_u16_e32 v114, v12, v11
	v_lshlrev_b32_sdwa v83, v63, v114 dst_sel:DWORD dst_unused:UNUSED_PAD src0_sel:DWORD src1_sel:BYTE_0
	global_load_dwordx4 v[147:150], v83, s[8:9]
	global_load_dwordx4 v[151:154], v83, s[8:9] offset:16
	global_load_dwordx4 v[155:158], v83, s[8:9] offset:32
	;; [unrolled: 1-line block ×3, first 2 shown]
	v_add_u32_e32 v11, 34, v4
	v_mul_lo_u16_sdwa v2, v11, v2 dst_sel:DWORD dst_unused:UNUSED_PAD src0_sel:BYTE_0 src1_sel:DWORD
	v_sub_u16_sdwa v84, v11, v2 dst_sel:DWORD dst_unused:UNUSED_PAD src0_sel:DWORD src1_sel:BYTE_1
	v_lshrrev_b16_e32 v84, 1, v84
	v_and_b32_e32 v84, 0x7f, v84
	v_add_u16_sdwa v2, v84, v2 dst_sel:DWORD dst_unused:UNUSED_PAD src0_sel:DWORD src1_sel:BYTE_1
	v_lshrrev_b16_e32 v2, 2, v2
	v_mul_lo_u16_e32 v2, 7, v2
	v_sub_u16_e32 v2, v11, v2
	v_lshlrev_b32_sdwa v163, v63, v2 dst_sel:DWORD dst_unused:UNUSED_PAD src0_sel:DWORD src1_sel:BYTE_0
	s_movk_i32 s6, 0x3b76
	s_movk_i32 s7, 0x39e9
	;; [unrolled: 1-line block ×4, first 2 shown]
	s_mov_b32 s12, 0xb461
	s_mov_b32 s13, 0xb8d2
	;; [unrolled: 1-line block ×4, first 2 shown]
	s_movk_i32 s4, 0xee
	v_mad_u32_u24 v111, v111, s4, 0
	s_mov_b32 s26, 0xb5c8
	s_mov_b32 s23, 0xb964
	;; [unrolled: 1-line block ×8, first 2 shown]
	s_movk_i32 s28, 0x3836
	s_movk_i32 s20, 0x3bb2
	;; [unrolled: 1-line block ×8, first 2 shown]
	s_waitcnt vmcnt(7) lgkmcnt(14)
	v_mul_f16_sdwa v96, v72, v91 dst_sel:DWORD dst_unused:UNUSED_PAD src0_sel:DWORD src1_sel:WORD_1
	v_mul_f16_sdwa v97, v54, v91 dst_sel:DWORD dst_unused:UNUSED_PAD src0_sel:DWORD src1_sel:WORD_1
	s_waitcnt vmcnt(5)
	v_mul_f16_sdwa v176, v64, v142 dst_sel:DWORD dst_unused:UNUSED_PAD src0_sel:DWORD src1_sel:WORD_1
	v_mul_f16_sdwa v177, v45, v142 dst_sel:DWORD dst_unused:UNUSED_PAD src0_sel:DWORD src1_sel:WORD_1
	v_fma_f16 v99, v54, v91, v96
	v_fma_f16 v100, v72, v91, -v97
	v_fma_f16 v91, v45, v142, v176
	s_waitcnt vmcnt(4)
	v_mul_f16_sdwa v45, v52, v144 dst_sel:DWORD dst_unused:UNUSED_PAD src0_sel:DWORD src1_sel:WORD_1
	v_mul_f16_sdwa v63, v71, v89 dst_sel:DWORD dst_unused:UNUSED_PAD src0_sel:DWORD src1_sel:WORD_1
	;; [unrolled: 1-line block ×6, first 2 shown]
	s_waitcnt lgkmcnt(5)
	v_mul_f16_sdwa v180, v102, v144 dst_sel:DWORD dst_unused:UNUSED_PAD src0_sel:DWORD src1_sel:WORD_1
	v_fma_f16 v102, v102, v144, -v45
	v_mul_f16_sdwa v45, v47, v145 dst_sel:DWORD dst_unused:UNUSED_PAD src0_sel:DWORD src1_sel:WORD_1
	v_mul_f16_sdwa v101, v70, v92 dst_sel:DWORD dst_unused:UNUSED_PAD src0_sel:DWORD src1_sel:WORD_1
	;; [unrolled: 1-line block ×3, first 2 shown]
	v_fma_f16 v107, v53, v89, v63
	v_fma_f16 v108, v71, v89, -v83
	v_fma_f16 v96, v70, v92, -v105
	v_fma_f16 v89, v60, v135, v106
	v_fma_f16 v70, v46, v138, v168
	v_mul_f16_sdwa v46, v76, v145 dst_sel:DWORD dst_unused:UNUSED_PAD src0_sel:DWORD src1_sel:WORD_1
	v_fma_f16 v106, v76, v145, -v45
	v_mul_f16_sdwa v45, v48, v146 dst_sel:DWORD dst_unused:UNUSED_PAD src0_sel:DWORD src1_sel:WORD_1
	v_mul_f16_sdwa v95, v58, v90 dst_sel:DWORD dst_unused:UNUSED_PAD src0_sel:DWORD src1_sel:WORD_1
	v_fma_f16 v105, v47, v145, v46
	s_waitcnt lgkmcnt(1)
	v_mul_f16_sdwa v46, v110, v146 dst_sel:DWORD dst_unused:UNUSED_PAD src0_sel:DWORD src1_sel:WORD_1
	v_fma_f16 v110, v110, v146, -v45
	s_waitcnt vmcnt(3)
	v_mul_f16_sdwa v45, v68, v147 dst_sel:DWORD dst_unused:UNUSED_PAD src0_sel:DWORD src1_sel:WORD_1
	v_fma_f16 v104, v77, v90, -v95
	v_fma_f16 v95, v49, v92, v101
	v_fma_f16 v92, v64, v142, -v177
	v_fma_f16 v64, v43, v147, v45
	v_mul_f16_sdwa v43, v43, v147 dst_sel:DWORD dst_unused:UNUSED_PAD src0_sel:DWORD src1_sel:WORD_1
	v_fma_f16 v76, v68, v147, -v43
	v_mul_f16_sdwa v43, v62, v148 dst_sel:DWORD dst_unused:UNUSED_PAD src0_sel:DWORD src1_sel:WORD_1
	v_fma_f16 v68, v39, v148, v43
	v_mul_f16_sdwa v39, v39, v148 dst_sel:DWORD dst_unused:UNUSED_PAD src0_sel:DWORD src1_sel:WORD_1
	v_mul_f16_sdwa v84, v77, v90 dst_sel:DWORD dst_unused:UNUSED_PAD src0_sel:DWORD src1_sel:WORD_1
	;; [unrolled: 1-line block ×7, first 2 shown]
	v_fma_f16 v71, v69, v138, -v169
	v_fma_f16 v69, v62, v148, -v39
	v_mul_f16_sdwa v39, v133, v149 dst_sel:DWORD dst_unused:UNUSED_PAD src0_sel:DWORD src1_sel:WORD_1
	v_fma_f16 v103, v58, v90, v84
	v_fma_f16 v90, v79, v135, -v109
	v_fma_f16 v83, v56, v136, v164
	v_fma_f16 v84, v78, v136, -v165
	;; [unrolled: 2-line block ×3, first 2 shown]
	global_load_dwordx4 v[135:138], v163, s[8:9]
	v_fma_f16 v62, v38, v149, v39
	v_mul_f16_sdwa v38, v38, v149 dst_sel:DWORD dst_unused:UNUSED_PAD src0_sel:DWORD src1_sel:WORD_1
	v_mul_f16_sdwa v178, v98, v143 dst_sel:DWORD dst_unused:UNUSED_PAD src0_sel:DWORD src1_sel:WORD_1
	v_fma_f16 v63, v133, v149, -v38
	v_mul_f16_sdwa v38, v134, v150 dst_sel:DWORD dst_unused:UNUSED_PAD src0_sel:DWORD src1_sel:WORD_1
	v_mul_f16_sdwa v179, v57, v143 dst_sel:DWORD dst_unused:UNUSED_PAD src0_sel:DWORD src1_sel:WORD_1
	v_fma_f16 v97, v57, v143, v178
	v_fma_f16 v57, v40, v150, v38
	v_mul_f16_sdwa v38, v40, v150 dst_sel:DWORD dst_unused:UNUSED_PAD src0_sel:DWORD src1_sel:WORD_1
	v_fma_f16 v58, v134, v150, -v38
	s_waitcnt vmcnt(3)
	v_mul_f16_sdwa v38, v131, v151 dst_sel:DWORD dst_unused:UNUSED_PAD src0_sel:DWORD src1_sel:WORD_1
	v_fma_f16 v53, v36, v151, v38
	v_mul_f16_sdwa v36, v36, v151 dst_sel:DWORD dst_unused:UNUSED_PAD src0_sel:DWORD src1_sel:WORD_1
	v_fma_f16 v56, v131, v151, -v36
	v_mul_f16_sdwa v36, v93, v152 dst_sel:DWORD dst_unused:UNUSED_PAD src0_sel:DWORD src1_sel:WORD_1
	v_fma_f16 v51, v34, v152, v36
	v_mul_f16_sdwa v34, v34, v152 dst_sel:DWORD dst_unused:UNUSED_PAD src0_sel:DWORD src1_sel:WORD_1
	v_mul_f16_sdwa v170, v85, v139 dst_sel:DWORD dst_unused:UNUSED_PAD src0_sel:DWORD src1_sel:WORD_1
	;; [unrolled: 1-line block ×7, first 2 shown]
	v_fma_f16 v101, v52, v144, v180
	v_fma_f16 v52, v93, v152, -v34
	v_mul_f16_sdwa v34, v87, v153 dst_sel:DWORD dst_unused:UNUSED_PAD src0_sel:DWORD src1_sel:WORD_1
	v_fma_f16 v72, v59, v139, v170
	v_fma_f16 v73, v85, v139, -v171
	v_fma_f16 v79, v55, v140, v172
	v_fma_f16 v80, v80, v140, -v173
	;; [unrolled: 2-line block ×3, first 2 shown]
	global_load_dwordx4 v[139:142], v163, s[8:9] offset:16
	v_fma_f16 v109, v48, v146, v46
	v_fma_f16 v48, v32, v153, v34
	v_mul_f16_sdwa v32, v32, v153 dst_sel:DWORD dst_unused:UNUSED_PAD src0_sel:DWORD src1_sel:WORD_1
	v_fma_f16 v50, v87, v153, -v32
	v_mul_f16_sdwa v32, v132, v154 dst_sel:DWORD dst_unused:UNUSED_PAD src0_sel:DWORD src1_sel:WORD_1
	v_fma_f16 v45, v35, v154, v32
	v_mul_f16_sdwa v32, v35, v154 dst_sel:DWORD dst_unused:UNUSED_PAD src0_sel:DWORD src1_sel:WORD_1
	v_fma_f16 v98, v98, v143, -v179
	global_load_dwordx4 v[143:146], v163, s[8:9] offset:32
	v_fma_f16 v46, v132, v154, -v32
	global_load_dwordx4 v[131:134], v163, s[8:9] offset:48
	s_waitcnt vmcnt(5)
	v_mul_f16_sdwa v32, v74, v155 dst_sel:DWORD dst_unused:UNUSED_PAD src0_sel:DWORD src1_sel:WORD_1
	v_fma_f16 v47, v31, v155, v32
	v_mul_f16_sdwa v31, v31, v155 dst_sel:DWORD dst_unused:UNUSED_PAD src0_sel:DWORD src1_sel:WORD_1
	v_fma_f16 v49, v74, v155, -v31
	v_mul_f16_sdwa v31, v66, v156 dst_sel:DWORD dst_unused:UNUSED_PAD src0_sel:DWORD src1_sel:WORD_1
	v_fma_f16 v54, v28, v156, v31
	v_mul_f16_sdwa v28, v28, v156 dst_sel:DWORD dst_unused:UNUSED_PAD src0_sel:DWORD src1_sel:WORD_1
	v_fma_f16 v55, v66, v156, -v28
	;; [unrolled: 4-line block ×4, first 2 shown]
	s_waitcnt vmcnt(4)
	v_mul_f16_sdwa v26, v75, v159 dst_sel:DWORD dst_unused:UNUSED_PAD src0_sel:DWORD src1_sel:WORD_1
	v_fma_f16 v74, v27, v159, v26
	v_mul_f16_sdwa v26, v27, v159 dst_sel:DWORD dst_unused:UNUSED_PAD src0_sel:DWORD src1_sel:WORD_1
	v_fma_f16 v75, v75, v159, -v26
	v_mul_f16_sdwa v26, v82, v160 dst_sel:DWORD dst_unused:UNUSED_PAD src0_sel:DWORD src1_sel:WORD_1
	v_fma_f16 v81, v22, v160, v26
	v_mul_f16_sdwa v22, v22, v160 dst_sel:DWORD dst_unused:UNUSED_PAD src0_sel:DWORD src1_sel:WORD_1
	v_fma_f16 v82, v82, v160, -v22
	;; [unrolled: 4-line block ×3, first 2 shown]
	s_waitcnt lgkmcnt(0)
	v_mul_f16_sdwa v17, v94, v162 dst_sel:DWORD dst_unused:UNUSED_PAD src0_sel:DWORD src1_sel:WORD_1
	v_fma_f16 v93, v20, v162, v17
	v_mul_f16_sdwa v17, v20, v162 dst_sel:DWORD dst_unused:UNUSED_PAD src0_sel:DWORD src1_sel:WORD_1
	v_fma_f16 v94, v94, v162, -v17
	v_sub_f16_e32 v148, v69, v88
	v_mul_f16_e32 v149, 0xb964, v148
	s_waitcnt vmcnt(3)
	v_mul_f16_sdwa v17, v130, v135 dst_sel:DWORD dst_unused:UNUSED_PAD src0_sel:DWORD src1_sel:WORD_1
	v_fma_f16 v38, v25, v135, v17
	v_mul_f16_sdwa v17, v25, v135 dst_sel:DWORD dst_unused:UNUSED_PAD src0_sel:DWORD src1_sel:WORD_1
	v_fma_f16 v39, v130, v135, -v17
	v_mul_f16_sdwa v17, v129, v136 dst_sel:DWORD dst_unused:UNUSED_PAD src0_sel:DWORD src1_sel:WORD_1
	v_fma_f16 v34, v24, v136, v17
	v_mul_f16_sdwa v17, v24, v136 dst_sel:DWORD dst_unused:UNUSED_PAD src0_sel:DWORD src1_sel:WORD_1
	v_fma_f16 v35, v129, v136, -v17
	;; [unrolled: 4-line block ×4, first 2 shown]
	; wave barrier
	s_waitcnt vmcnt(2)
	v_mul_f16_sdwa v17, v126, v139 dst_sel:DWORD dst_unused:UNUSED_PAD src0_sel:DWORD src1_sel:WORD_1
	v_fma_f16 v24, v16, v139, v17
	v_mul_f16_sdwa v16, v16, v139 dst_sel:DWORD dst_unused:UNUSED_PAD src0_sel:DWORD src1_sel:WORD_1
	v_fma_f16 v25, v126, v139, -v16
	v_mul_f16_sdwa v16, v125, v140 dst_sel:DWORD dst_unused:UNUSED_PAD src0_sel:DWORD src1_sel:WORD_1
	v_fma_f16 v20, v14, v140, v16
	v_mul_f16_sdwa v14, v14, v140 dst_sel:DWORD dst_unused:UNUSED_PAD src0_sel:DWORD src1_sel:WORD_1
	v_fma_f16 v21, v125, v140, -v14
	v_mul_f16_sdwa v14, v123, v141 dst_sel:DWORD dst_unused:UNUSED_PAD src0_sel:DWORD src1_sel:WORD_1
	v_fma_f16 v16, v9, v141, v14
	v_mul_f16_sdwa v9, v9, v141 dst_sel:DWORD dst_unused:UNUSED_PAD src0_sel:DWORD src1_sel:WORD_1
	s_waitcnt vmcnt(0)
	v_mul_f16_sdwa v40, v116, v133 dst_sel:DWORD dst_unused:UNUSED_PAD src0_sel:DWORD src1_sel:WORD_1
	v_mul_f16_sdwa v36, v117, v132 dst_sel:DWORD dst_unused:UNUSED_PAD src0_sel:DWORD src1_sel:WORD_1
	v_fma_f16 v40, v41, v133, v40
	v_mul_f16_sdwa v41, v41, v133 dst_sel:DWORD dst_unused:UNUSED_PAD src0_sel:DWORD src1_sel:WORD_1
	v_mul_f16_sdwa v43, v115, v134 dst_sel:DWORD dst_unused:UNUSED_PAD src0_sel:DWORD src1_sel:WORD_1
	;; [unrolled: 1-line block ×5, first 2 shown]
	v_fma_f16 v36, v37, v132, v36
	v_mul_f16_sdwa v37, v37, v132 dst_sel:DWORD dst_unused:UNUSED_PAD src0_sel:DWORD src1_sel:WORD_1
	v_fma_f16 v41, v116, v133, -v41
	v_fma_f16 v43, v44, v134, v43
	v_mul_f16_sdwa v44, v44, v134 dst_sel:DWORD dst_unused:UNUSED_PAD src0_sel:DWORD src1_sel:WORD_1
	v_sub_f16_e32 v116, v108, v110
	v_fma_f16 v17, v123, v141, -v9
	v_mul_f16_sdwa v9, v122, v142 dst_sel:DWORD dst_unused:UNUSED_PAD src0_sel:DWORD src1_sel:WORD_1
	v_mul_f16_sdwa v14, v124, v143 dst_sel:DWORD dst_unused:UNUSED_PAD src0_sel:DWORD src1_sel:WORD_1
	v_fma_f16 v18, v19, v144, v18
	v_mul_f16_sdwa v19, v19, v144 dst_sel:DWORD dst_unused:UNUSED_PAD src0_sel:DWORD src1_sel:WORD_1
	v_mul_f16_sdwa v22, v120, v145 dst_sel:DWORD dst_unused:UNUSED_PAD src0_sel:DWORD src1_sel:WORD_1
	v_fma_f16 v28, v29, v146, v28
	v_mul_f16_sdwa v29, v29, v146 dst_sel:DWORD dst_unused:UNUSED_PAD src0_sel:DWORD src1_sel:WORD_1
	v_fma_f16 v32, v33, v131, v32
	v_mul_f16_sdwa v33, v33, v131 dst_sel:DWORD dst_unused:UNUSED_PAD src0_sel:DWORD src1_sel:WORD_1
	v_fma_f16 v37, v117, v132, -v37
	v_fma_f16 v44, v115, v134, -v44
	v_add_f16_e32 v115, v107, v109
	v_mul_f16_e32 v117, 0xb5c8, v116
	v_fma_f16 v9, v13, v142, v9
	v_mul_f16_sdwa v13, v13, v142 dst_sel:DWORD dst_unused:UNUSED_PAD src0_sel:DWORD src1_sel:WORD_1
	v_fma_f16 v14, v15, v143, v14
	v_mul_f16_sdwa v15, v15, v143 dst_sel:DWORD dst_unused:UNUSED_PAD src0_sel:DWORD src1_sel:WORD_1
	v_fma_f16 v19, v121, v144, -v19
	v_fma_f16 v22, v23, v145, v22
	v_mul_f16_sdwa v23, v23, v145 dst_sel:DWORD dst_unused:UNUSED_PAD src0_sel:DWORD src1_sel:WORD_1
	v_fma_f16 v29, v119, v146, -v29
	v_fma_f16 v33, v118, v131, -v33
	v_fma_f16 v118, v115, s6, v117
	v_mul_f16_e32 v119, 0xb964, v116
	v_mul_f16_e32 v121, 0xbb29, v116
	;; [unrolled: 1-line block ×7, first 2 shown]
	v_sub_f16_e32 v132, v104, v106
	v_fma_f16 v13, v122, v142, -v13
	v_fma_f16 v15, v124, v143, -v15
	;; [unrolled: 1-line block ×4, first 2 shown]
	v_fma_f16 v120, v115, s7, v119
	v_fma_f16 v119, v115, s7, -v119
	v_fma_f16 v122, v115, s10, v121
	v_fma_f16 v121, v115, s10, -v121
	;; [unrolled: 2-line block ×7, first 2 shown]
	v_add_f16_e32 v116, v67, v118
	v_add_f16_e32 v118, v103, v105
	v_mul_f16_e32 v133, 0xb964, v132
	v_fma_f16 v134, v118, s7, v133
	v_add_f16_e32 v117, v67, v117
	v_fma_f16 v133, v118, s7, -v133
	v_add_f16_e32 v117, v133, v117
	v_mul_f16_e32 v133, 0xbbf7, v132
	v_add_f16_e32 v116, v134, v116
	v_fma_f16 v134, v118, s11, v133
	v_add_f16_e32 v119, v67, v119
	v_fma_f16 v133, v118, s11, -v133
	v_add_f16_e32 v120, v67, v120
	v_add_f16_e32 v119, v133, v119
	v_mul_f16_e32 v133, 0xba62, v132
	v_add_f16_e32 v120, v134, v120
	v_fma_f16 v134, v118, s13, v133
	v_add_f16_e32 v121, v67, v121
	v_fma_f16 v133, v118, s13, -v133
	v_add_f16_e32 v122, v67, v122
	;; [unrolled: 7-line block ×5, first 2 shown]
	v_add_f16_e32 v127, v133, v127
	v_mul_f16_e32 v133, 0x3b29, v132
	v_add_f16_e32 v128, v134, v128
	v_fma_f16 v134, v118, s10, v133
	v_add_f16_e32 v129, v67, v129
	v_fma_f16 v133, v118, s10, -v133
	v_mul_f16_e32 v132, 0x35c8, v132
	v_add_f16_e32 v129, v133, v129
	v_add_f16_e32 v131, v67, v131
	v_fma_f16 v133, v118, s6, v132
	v_fma_f16 v118, v118, s6, -v132
	v_add_f16_e32 v115, v67, v115
	v_sub_f16_e32 v132, v100, v102
	v_add_f16_e32 v130, v67, v130
	v_add_f16_e32 v131, v133, v131
	v_add_f16_e32 v115, v118, v115
	v_add_f16_e32 v118, v99, v101
	v_mul_f16_e32 v133, 0xbb29, v132
	v_add_f16_e32 v130, v134, v130
	v_fma_f16 v134, v118, s10, v133
	v_fma_f16 v133, v118, s10, -v133
	v_add_f16_e32 v117, v133, v117
	v_mul_f16_e32 v133, 0xba62, v132
	v_add_f16_e32 v116, v134, v116
	v_fma_f16 v134, v118, s13, v133
	v_fma_f16 v133, v118, s13, -v133
	v_add_f16_e32 v119, v133, v119
	v_mul_f16_e32 v133, 0x31e1, v132
	v_add_f16_e32 v120, v134, v120
	v_fma_f16 v134, v118, s15, v133
	v_fma_f16 v133, v118, s15, -v133
	v_add_f16_e32 v121, v133, v121
	v_mul_f16_e32 v133, 0x3bb2, v132
	v_add_f16_e32 v122, v134, v122
	v_fma_f16 v134, v118, s12, v133
	v_fma_f16 v133, v118, s12, -v133
	v_add_f16_e32 v123, v133, v123
	v_mul_f16_e32 v133, 0x3964, v132
	v_add_f16_e32 v124, v134, v124
	v_fma_f16 v134, v118, s7, v133
	v_fma_f16 v133, v118, s7, -v133
	v_add_f16_e32 v125, v133, v125
	v_mul_f16_e32 v133, 0xb5c8, v132
	v_add_f16_e32 v126, v134, v126
	v_fma_f16 v134, v118, s6, v133
	v_fma_f16 v133, v118, s6, -v133
	v_add_f16_e32 v127, v133, v127
	v_mul_f16_e32 v133, 0xbbf7, v132
	v_add_f16_e32 v128, v134, v128
	v_fma_f16 v134, v118, s11, v133
	v_fma_f16 v133, v118, s11, -v133
	v_mul_f16_e32 v132, 0xb836, v132
	v_add_f16_e32 v129, v133, v129
	v_fma_f16 v133, v118, s14, v132
	v_fma_f16 v118, v118, s14, -v132
	v_sub_f16_e32 v132, v96, v98
	v_add_f16_e32 v131, v133, v131
	v_add_f16_e32 v115, v118, v115
	v_add_f16_e32 v118, v95, v97
	v_mul_f16_e32 v133, 0xbbf7, v132
	v_add_f16_e32 v130, v134, v130
	v_fma_f16 v134, v118, s11, v133
	v_fma_f16 v133, v118, s11, -v133
	v_add_f16_e32 v117, v133, v117
	v_mul_f16_e32 v133, 0xb1e1, v132
	v_add_f16_e32 v116, v134, v116
	v_fma_f16 v134, v118, s15, v133
	v_fma_f16 v133, v118, s15, -v133
	v_add_f16_e32 v119, v133, v119
	v_mul_f16_e32 v133, 0x3bb2, v132
	v_add_f16_e32 v120, v134, v120
	v_fma_f16 v134, v118, s12, v133
	v_fma_f16 v133, v118, s12, -v133
	v_add_f16_e32 v121, v133, v121
	v_mul_f16_e32 v133, 0x35c8, v132
	v_add_f16_e32 v122, v134, v122
	v_fma_f16 v134, v118, s6, v133
	v_fma_f16 v133, v118, s6, -v133
	v_add_f16_e32 v123, v133, v123
	v_mul_f16_e32 v133, 0xbb29, v132
	v_add_f16_e32 v124, v134, v124
	v_fma_f16 v134, v118, s10, v133
	v_fma_f16 v133, v118, s10, -v133
	v_add_f16_e32 v125, v133, v125
	v_mul_f16_e32 v133, 0xb836, v132
	v_add_f16_e32 v126, v134, v126
	v_fma_f16 v134, v118, s14, v133
	v_fma_f16 v133, v118, s14, -v133
	v_add_f16_e32 v127, v133, v127
	v_mul_f16_e32 v133, 0x3a62, v132
	v_add_f16_e32 v128, v134, v128
	v_fma_f16 v134, v118, s13, v133
	v_fma_f16 v133, v118, s13, -v133
	v_mul_f16_e32 v132, 0x3964, v132
	v_add_f16_e32 v129, v133, v129
	v_fma_f16 v133, v118, s7, v132
	v_fma_f16 v118, v118, s7, -v132
	v_sub_f16_e32 v132, v90, v92
	v_add_f16_e32 v131, v133, v131
	v_add_f16_e32 v115, v118, v115
	v_add_f16_e32 v118, v89, v91
	;; [unrolled: 42-line block ×6, first 2 shown]
	v_mul_f16_e32 v133, 0xb5c8, v132
	v_add_f16_e32 v130, v134, v130
	v_fma_f16 v134, v115, s6, v133
	v_mul_f16_e32 v135, 0xb964, v132
	v_mul_f16_e32 v137, 0xbb29, v132
	;; [unrolled: 1-line block ×7, first 2 shown]
	v_fma_f16 v133, v115, s6, -v133
	v_fma_f16 v136, v115, s7, v135
	v_fma_f16 v135, v115, s7, -v135
	v_fma_f16 v138, v115, s10, v137
	;; [unrolled: 2-line block ×7, first 2 shown]
	v_fma_f16 v115, v115, s15, -v132
	v_add_f16_e32 v132, v61, v134
	v_add_f16_e32 v134, v68, v87
	v_fma_f16 v150, v134, s7, v149
	v_add_f16_e32 v133, v61, v133
	v_fma_f16 v149, v134, s7, -v149
	v_add_f16_e32 v133, v149, v133
	v_mul_f16_e32 v149, 0xbbf7, v148
	v_add_f16_e32 v132, v150, v132
	v_fma_f16 v150, v134, s11, v149
	v_add_f16_e32 v135, v61, v135
	v_fma_f16 v149, v134, s11, -v149
	v_add_f16_e32 v136, v61, v136
	v_add_f16_e32 v135, v149, v135
	v_mul_f16_e32 v149, 0xba62, v148
	v_add_f16_e32 v136, v150, v136
	v_fma_f16 v150, v134, s13, v149
	v_add_f16_e32 v137, v61, v137
	v_fma_f16 v149, v134, s13, -v149
	v_add_f16_e32 v138, v61, v138
	;; [unrolled: 7-line block ×5, first 2 shown]
	v_add_f16_e32 v143, v149, v143
	v_mul_f16_e32 v149, 0x3b29, v148
	v_add_f16_e32 v144, v150, v144
	v_fma_f16 v150, v134, s10, v149
	v_add_f16_e32 v145, v61, v145
	v_fma_f16 v149, v134, s10, -v149
	v_mul_f16_e32 v148, 0x35c8, v148
	v_add_f16_e32 v145, v149, v145
	v_add_f16_e32 v147, v61, v147
	v_fma_f16 v149, v134, s6, v148
	v_fma_f16 v134, v134, s6, -v148
	v_add_f16_e32 v115, v61, v115
	v_sub_f16_e32 v148, v63, v82
	v_add_f16_e32 v146, v61, v146
	v_add_f16_e32 v147, v149, v147
	;; [unrolled: 1-line block ×4, first 2 shown]
	v_mul_f16_e32 v149, 0xbb29, v148
	v_add_f16_e32 v146, v150, v146
	v_fma_f16 v150, v134, s10, v149
	v_fma_f16 v149, v134, s10, -v149
	v_add_f16_e32 v133, v149, v133
	v_mul_f16_e32 v149, 0xba62, v148
	v_add_f16_e32 v132, v150, v132
	v_fma_f16 v150, v134, s13, v149
	v_fma_f16 v149, v134, s13, -v149
	v_add_f16_e32 v135, v149, v135
	v_mul_f16_e32 v149, 0x31e1, v148
	v_add_f16_e32 v136, v150, v136
	v_fma_f16 v150, v134, s15, v149
	v_fma_f16 v149, v134, s15, -v149
	v_add_f16_e32 v137, v149, v137
	v_mul_f16_e32 v149, 0x3bb2, v148
	v_add_f16_e32 v138, v150, v138
	v_fma_f16 v150, v134, s12, v149
	v_fma_f16 v149, v134, s12, -v149
	v_add_f16_e32 v139, v149, v139
	v_mul_f16_e32 v149, 0x3964, v148
	v_add_f16_e32 v140, v150, v140
	v_fma_f16 v150, v134, s7, v149
	v_fma_f16 v149, v134, s7, -v149
	v_add_f16_e32 v141, v149, v141
	v_mul_f16_e32 v149, 0xb5c8, v148
	v_add_f16_e32 v142, v150, v142
	v_fma_f16 v150, v134, s6, v149
	v_fma_f16 v149, v134, s6, -v149
	v_add_f16_e32 v143, v149, v143
	v_mul_f16_e32 v149, 0xbbf7, v148
	v_add_f16_e32 v144, v150, v144
	v_fma_f16 v150, v134, s11, v149
	v_fma_f16 v149, v134, s11, -v149
	v_mul_f16_e32 v148, 0xb836, v148
	v_add_f16_e32 v145, v149, v145
	v_fma_f16 v149, v134, s14, v148
	v_fma_f16 v134, v134, s14, -v148
	v_sub_f16_e32 v148, v58, v75
	v_add_f16_e32 v147, v149, v147
	v_add_f16_e32 v115, v134, v115
	v_add_f16_e32 v134, v57, v74
	v_mul_f16_e32 v149, 0xbbf7, v148
	v_add_f16_e32 v146, v150, v146
	v_fma_f16 v150, v134, s11, v149
	v_fma_f16 v149, v134, s11, -v149
	v_add_f16_e32 v133, v149, v133
	v_mul_f16_e32 v149, 0xb1e1, v148
	v_add_f16_e32 v132, v150, v132
	v_fma_f16 v150, v134, s15, v149
	v_fma_f16 v149, v134, s15, -v149
	v_add_f16_e32 v135, v149, v135
	v_mul_f16_e32 v149, 0x3bb2, v148
	v_add_f16_e32 v136, v150, v136
	v_fma_f16 v150, v134, s12, v149
	v_fma_f16 v149, v134, s12, -v149
	v_add_f16_e32 v137, v149, v137
	v_mul_f16_e32 v149, 0x35c8, v148
	v_add_f16_e32 v138, v150, v138
	v_fma_f16 v150, v134, s6, v149
	v_fma_f16 v149, v134, s6, -v149
	v_add_f16_e32 v139, v149, v139
	v_mul_f16_e32 v149, 0xbb29, v148
	v_add_f16_e32 v140, v150, v140
	v_fma_f16 v150, v134, s10, v149
	v_fma_f16 v149, v134, s10, -v149
	v_add_f16_e32 v141, v149, v141
	v_mul_f16_e32 v149, 0xb836, v148
	v_add_f16_e32 v142, v150, v142
	v_fma_f16 v150, v134, s14, v149
	v_fma_f16 v149, v134, s14, -v149
	v_add_f16_e32 v143, v149, v143
	v_mul_f16_e32 v149, 0x3a62, v148
	v_add_f16_e32 v144, v150, v144
	v_fma_f16 v150, v134, s13, v149
	v_fma_f16 v149, v134, s13, -v149
	v_mul_f16_e32 v148, 0x3964, v148
	v_add_f16_e32 v145, v149, v145
	v_fma_f16 v149, v134, s7, v148
	v_fma_f16 v134, v134, s7, -v148
	v_sub_f16_e32 v148, v56, v66
	v_add_f16_e32 v147, v149, v147
	v_add_f16_e32 v115, v134, v115
	v_add_f16_e32 v134, v53, v65
	;; [unrolled: 42-line block ×5, first 2 shown]
	v_mul_f16_e32 v149, 0xb1e1, v148
	v_add_f16_e32 v146, v150, v146
	v_fma_f16 v150, v134, s15, v149
	v_fma_f16 v149, v134, s15, -v149
	v_add_f16_e32 v133, v149, v133
	v_mul_f16_e32 v149, 0x35c8, v148
	v_add_f16_e32 v67, v67, v107
	v_add_f16_e32 v132, v150, v132
	v_fma_f16 v150, v134, s6, v149
	v_fma_f16 v149, v134, s6, -v149
	v_add_f16_e32 v67, v67, v103
	v_add_f16_e32 v135, v149, v135
	v_mul_f16_e32 v149, 0xb836, v148
	v_add_f16_e32 v67, v67, v99
	v_add_f16_e32 v61, v61, v64
	v_add_f16_e32 v136, v150, v136
	v_fma_f16 v150, v134, s14, v149
	v_fma_f16 v149, v134, s14, -v149
	v_add_f16_e32 v67, v67, v95
	v_add_f16_e32 v61, v61, v68
	v_add_f16_e32 v137, v149, v137
	v_mul_f16_e32 v149, 0x3964, v148
	v_add_f16_e32 v67, v67, v89
	v_add_f16_e32 v61, v61, v62
	v_add_f16_e32 v138, v150, v138
	v_fma_f16 v150, v134, s7, v149
	v_fma_f16 v149, v134, s7, -v149
	v_add_f16_e32 v67, v67, v83
	;; [unrolled: 9-line block ×4, first 2 shown]
	v_add_f16_e32 v61, v61, v45
	v_add_f16_e32 v143, v149, v143
	v_mul_f16_e32 v149, 0xbbb2, v148
	v_add_f16_e32 v67, v67, v85
	v_add_f16_e32 v61, v61, v47
	;; [unrolled: 1-line block ×3, first 2 shown]
	v_fma_f16 v150, v134, s12, v149
	v_fma_f16 v149, v134, s12, -v149
	v_mul_f16_e32 v148, 0x3bf7, v148
	v_add_f16_e32 v67, v67, v91
	v_add_f16_e32 v61, v61, v54
	;; [unrolled: 1-line block ×3, first 2 shown]
	v_fma_f16 v149, v134, s11, v148
	v_fma_f16 v134, v134, s11, -v148
	v_add_f16_e32 v67, v67, v97
	v_add_f16_e32 v61, v61, v59
	;; [unrolled: 1-line block ×3, first 2 shown]
	v_mov_b32_e32 v115, 1
	v_add_f16_e32 v67, v67, v101
	v_add_f16_e32 v61, v61, v65
	v_lshlrev_b32_sdwa v112, v115, v112 dst_sel:DWORD dst_unused:UNUSED_PAD src0_sel:DWORD src1_sel:BYTE_0
	v_add_f16_e32 v67, v67, v105
	v_add_f16_e32 v61, v61, v74
	v_add3_u32 v111, v111, v112, v0
	v_add_f16_e32 v67, v67, v109
	v_add_f16_e32 v61, v61, v81
	ds_write_b16 v111, v67
	ds_write_b16 v111, v116 offset:14
	ds_write_b16 v111, v120 offset:28
	;; [unrolled: 1-line block ×15, first 2 shown]
	v_add_f16_e32 v61, v61, v87
	v_mad_u32_u24 v67, v113, s4, 0
	v_lshlrev_b32_sdwa v112, v115, v114 dst_sel:DWORD dst_unused:UNUSED_PAD src0_sel:DWORD src1_sel:BYTE_0
	v_add_f16_e32 v61, v61, v93
	v_add3_u32 v67, v67, v112, v0
	v_add_f16_e32 v146, v150, v146
	v_add_f16_e32 v147, v149, v147
	ds_write_b16 v111, v117 offset:224
	ds_write_b16 v67, v61
	ds_write_b16 v67, v132 offset:14
	ds_write_b16 v67, v136 offset:28
	ds_write_b16 v67, v138 offset:42
	ds_write_b16 v67, v140 offset:56
	ds_write_b16 v67, v142 offset:70
	ds_write_b16 v67, v144 offset:84
	ds_write_b16 v67, v146 offset:98
	ds_write_b16 v67, v147 offset:112
	ds_write_b16 v67, v134 offset:126
	ds_write_b16 v67, v145 offset:140
	ds_write_b16 v67, v143 offset:154
	ds_write_b16 v67, v141 offset:168
	ds_write_b16 v67, v139 offset:182
	ds_write_b16 v67, v137 offset:196
	ds_write_b16 v67, v135 offset:210
	ds_write_b16 v67, v133 offset:224
	s_and_saveexec_b64 s[4:5], s[0:1]
	s_cbranch_execz .LBB0_16
; %bb.15:
	v_sub_f16_e32 v113, v39, v44
	v_add_f16_e32 v112, v38, v43
	v_mul_f16_e32 v114, 0xb1e1, v113
	v_sub_f16_e32 v118, v35, v41
	v_fma_f16 v116, v112, s15, -v114
	v_add_f16_e32 v117, v34, v40
	v_mul_f16_e32 v119, 0x35c8, v118
	v_add_f16_e32 v116, v8, v116
	v_fma_f16 v120, v117, s6, -v119
	v_sub_f16_e32 v121, v31, v37
	v_add_f16_e32 v116, v120, v116
	v_add_f16_e32 v120, v30, v36
	v_mul_f16_e32 v122, 0xb836, v121
	v_fma_f16 v123, v120, s14, -v122
	v_sub_f16_e32 v124, v27, v33
	v_add_f16_e32 v116, v123, v116
	v_add_f16_e32 v123, v26, v32
	v_mul_f16_e32 v125, 0x3964, v124
	;; [unrolled: 5-line block ×3, first 2 shown]
	v_fma_f16 v114, v112, s15, v114
	v_fma_f16 v129, v126, s13, -v128
	v_sub_f16_e32 v130, v21, v23
	v_add_f16_e32 v114, v8, v114
	v_fma_f16 v119, v117, s6, v119
	v_add_f16_e32 v116, v129, v116
	v_add_f16_e32 v129, v20, v22
	v_mul_f16_e32 v131, 0x3b29, v130
	v_add_f16_e32 v114, v119, v114
	v_fma_f16 v119, v120, s14, v122
	v_fma_f16 v132, v129, s10, -v131
	v_sub_f16_e32 v133, v17, v19
	v_add_f16_e32 v114, v119, v114
	v_fma_f16 v119, v123, s7, v125
	v_add_f16_e32 v116, v132, v116
	v_add_f16_e32 v132, v16, v18
	v_mul_f16_e32 v134, 0xbbb2, v133
	v_add_f16_e32 v114, v119, v114
	;; [unrolled: 9-line block ×3, first 2 shown]
	v_fma_f16 v119, v132, s12, v134
	v_add_f16_e32 v114, v119, v114
	v_fma_f16 v119, v135, s11, v137
	v_add_f16_e32 v114, v119, v114
	v_mul_f16_e32 v119, 0xb836, v113
	v_fma_f16 v122, v112, s14, -v119
	v_mul_f16_e32 v125, 0x3b29, v118
	v_add_f16_e32 v122, v8, v122
	v_fma_f16 v128, v117, s10, -v125
	v_add_f16_e32 v122, v128, v122
	v_mul_f16_e32 v128, 0xbbf7, v121
	v_fma_f16 v131, v120, s11, -v128
	v_add_f16_e32 v122, v131, v122
	v_mul_f16_e32 v131, 0x3a62, v124
	v_fma_f16 v134, v123, s13, -v131
	v_add_f16_e32 v122, v134, v122
	v_mul_f16_e32 v134, 0xb5c8, v127
	v_fma_f16 v119, v112, s14, v119
	v_fma_f16 v138, v135, s11, -v137
	v_fma_f16 v137, v126, s6, -v134
	v_add_f16_e32 v119, v8, v119
	v_fma_f16 v125, v117, s10, v125
	v_add_f16_e32 v122, v137, v122
	v_mul_f16_e32 v137, 0xb1e1, v130
	v_add_f16_e32 v119, v125, v119
	v_fma_f16 v125, v120, s11, v128
	v_add_f16_e32 v116, v138, v116
	v_fma_f16 v138, v129, s15, -v137
	v_add_f16_e32 v119, v125, v119
	v_fma_f16 v125, v123, s13, v131
	v_add_f16_e32 v122, v138, v122
	v_mul_f16_e32 v138, 0x3964, v133
	v_add_f16_e32 v119, v125, v119
	v_fma_f16 v125, v126, s6, v134
	v_fma_f16 v139, v132, s7, -v138
	v_add_f16_e32 v119, v125, v119
	v_fma_f16 v125, v129, s15, v137
	v_add_f16_e32 v122, v139, v122
	v_mul_f16_e32 v139, 0xbbb2, v136
	v_add_f16_e32 v119, v125, v119
	v_fma_f16 v125, v132, s7, v138
	v_add_f16_e32 v119, v125, v119
	v_fma_f16 v125, v135, s12, v139
	v_add_f16_e32 v119, v125, v119
	v_mul_f16_e32 v125, 0xba62, v113
	v_fma_f16 v128, v112, s13, -v125
	v_mul_f16_e32 v131, 0x3bb2, v118
	v_add_f16_e32 v128, v8, v128
	v_fma_f16 v134, v117, s12, -v131
	v_add_f16_e32 v128, v134, v128
	v_mul_f16_e32 v134, 0xb5c8, v121
	v_fma_f16 v137, v120, s6, -v134
	v_add_f16_e32 v128, v137, v128
	v_mul_f16_e32 v137, 0xb836, v124
	v_fma_f16 v138, v123, s14, -v137
	v_add_f16_e32 v128, v138, v128
	v_mul_f16_e32 v138, 0x3bf7, v127
	v_fma_f16 v125, v112, s13, v125
	v_fma_f16 v140, v135, s12, -v139
	v_fma_f16 v139, v126, s11, -v138
	v_add_f16_e32 v125, v8, v125
	v_fma_f16 v131, v117, s12, v131
	v_add_f16_e32 v128, v139, v128
	v_mul_f16_e32 v139, 0xb964, v130
	v_add_f16_e32 v125, v131, v125
	v_fma_f16 v131, v120, s6, v134
	v_add_f16_e32 v122, v140, v122
	v_fma_f16 v140, v129, s7, -v139
	v_add_f16_e32 v125, v131, v125
	v_fma_f16 v131, v123, s14, v137
	v_add_f16_e32 v128, v140, v128
	v_mul_f16_e32 v140, 0xb1e1, v133
	v_add_f16_e32 v125, v131, v125
	v_fma_f16 v131, v126, s11, v138
	v_fma_f16 v141, v132, s15, -v140
	v_add_f16_e32 v125, v131, v125
	v_fma_f16 v131, v129, s7, v139
	v_add_f16_e32 v128, v141, v128
	v_mul_f16_e32 v141, 0x3b29, v136
	v_add_f16_e32 v125, v131, v125
	;; [unrolled: 40-line block ×5, first 2 shown]
	v_fma_f16 v141, v132, s11, v146
	v_add_f16_e32 v139, v141, v139
	v_fma_f16 v141, v135, s14, v147
	v_add_f16_e32 v139, v141, v139
	v_mul_f16_e32 v141, 0xb964, v113
	v_fma_f16 v142, v112, s7, -v141
	v_mul_f16_e32 v143, 0xbbf7, v118
	v_add_f16_e32 v142, v8, v142
	v_fma_f16 v144, v117, s11, -v143
	v_add_f16_e32 v142, v144, v142
	v_mul_f16_e32 v144, 0xba62, v121
	v_fma_f16 v145, v120, s13, -v144
	v_add_f16_e32 v142, v145, v142
	v_mul_f16_e32 v145, 0xb1e1, v124
	;; [unrolled: 3-line block ×3, first 2 shown]
	v_fma_f16 v141, v112, s7, v141
	v_fma_f16 v148, v135, s14, -v147
	v_fma_f16 v147, v126, s14, -v146
	v_add_f16_e32 v141, v8, v141
	v_fma_f16 v143, v117, s11, v143
	v_add_f16_e32 v61, v8, v38
	v_add_f16_e32 v142, v147, v142
	v_mul_f16_e32 v147, 0x3bb2, v130
	v_add_f16_e32 v141, v143, v141
	v_fma_f16 v143, v120, s13, v144
	v_add_f16_e32 v61, v61, v34
	v_add_f16_e32 v140, v148, v140
	v_fma_f16 v148, v129, s12, -v147
	v_add_f16_e32 v141, v143, v141
	v_fma_f16 v143, v123, s15, v145
	v_add_f16_e32 v61, v61, v30
	v_add_f16_e32 v142, v148, v142
	v_mul_f16_e32 v148, 0x3b29, v133
	v_add_f16_e32 v141, v143, v141
	v_fma_f16 v143, v126, s14, v146
	v_add_f16_e32 v61, v61, v26
	v_fma_f16 v149, v132, s10, -v148
	v_add_f16_e32 v141, v143, v141
	v_fma_f16 v143, v129, s12, v147
	v_add_f16_e32 v61, v61, v24
	v_add_f16_e32 v142, v149, v142
	v_mul_f16_e32 v149, 0x35c8, v136
	v_add_f16_e32 v141, v143, v141
	v_fma_f16 v143, v132, s10, v148
	v_add_f16_e32 v61, v61, v20
	v_add_f16_e32 v141, v143, v141
	v_fma_f16 v143, v135, s6, v149
	v_mul_f16_e32 v113, 0xb5c8, v113
	v_add_f16_e32 v61, v61, v16
	v_add_f16_e32 v141, v143, v141
	v_fma_f16 v143, v112, s6, -v113
	v_mul_f16_e32 v118, 0xb964, v118
	v_fma_f16 v112, v112, s6, v113
	v_add_f16_e32 v61, v61, v9
	v_add_f16_e32 v143, v8, v143
	v_mul_f16_e32 v121, 0xbb29, v121
	v_add_f16_e32 v8, v8, v112
	v_fma_f16 v112, v117, s7, v118
	v_add_f16_e32 v61, v61, v14
	v_mul_f16_e32 v124, 0xbbf7, v124
	v_add_f16_e32 v8, v112, v8
	v_fma_f16 v112, v120, s10, v121
	v_add_f16_e32 v61, v61, v18
	v_fma_f16 v144, v117, s7, -v118
	v_mul_f16_e32 v127, 0xbbb2, v127
	v_add_f16_e32 v8, v112, v8
	v_fma_f16 v112, v123, s11, v124
	v_add_f16_e32 v61, v61, v22
	v_add_f16_e32 v143, v144, v143
	v_fma_f16 v144, v120, s10, -v121
	v_mul_f16_e32 v130, 0xba62, v130
	v_add_f16_e32 v8, v112, v8
	v_fma_f16 v112, v126, s12, v127
	v_add_f16_e32 v61, v61, v28
	;; [unrolled: 6-line block ×4, first 2 shown]
	v_add_f16_e32 v143, v144, v143
	v_fma_f16 v144, v129, s13, -v130
	v_add_f16_e32 v8, v112, v8
	v_fma_f16 v112, v135, s15, v136
	v_add_f16_e32 v61, v61, v40
	v_add_f16_e32 v143, v144, v143
	v_fma_f16 v144, v132, s14, -v133
	v_add_f16_e32 v8, v112, v8
	v_lshlrev_b32_sdwa v112, v115, v2 dst_sel:DWORD dst_unused:UNUSED_PAD src0_sel:DWORD src1_sel:BYTE_0
	v_add_f16_e32 v61, v61, v43
	v_fma_f16 v150, v135, s6, -v149
	v_add_f16_e32 v143, v144, v143
	v_fma_f16 v144, v135, s15, -v136
	v_add3_u32 v112, 0, v112, v0
	v_add_f16_e32 v142, v150, v142
	v_add_f16_e32 v143, v144, v143
	ds_write_b16 v112, v61 offset:952
	ds_write_b16 v112, v8 offset:966
	;; [unrolled: 1-line block ×17, first 2 shown]
.LBB0_16:
	s_or_b64 exec, exec, s[4:5]
	v_add_f16_e32 v8, v42, v108
	v_add_f16_e32 v8, v8, v104
	;; [unrolled: 1-line block ×17, first 2 shown]
	v_sub_f16_e32 v107, v107, v109
	v_mul_f16_e32 v108, 0x3b76, v61
	v_mul_f16_e32 v110, 0x39e9, v61
	v_mul_f16_e32 v113, 0x3722, v61
	v_mul_f16_e32 v115, 0x2de8, v61
	v_mul_f16_e32 v117, 0xb461, v61
	v_mul_f16_e32 v119, 0xb8d2, v61
	v_mul_f16_e32 v121, 0xbacd, v61
	v_mul_f16_e32 v61, 0xbbdd, v61
	v_fma_f16 v109, v107, s29, v108
	v_fma_f16 v108, v107, s26, v108
	;; [unrolled: 1-line block ×16, first 2 shown]
	v_add_f16_e32 v109, v42, v109
	v_add_f16_e32 v108, v42, v108
	;; [unrolled: 1-line block ×17, first 2 shown]
	v_sub_f16_e32 v103, v103, v105
	v_mul_f16_e32 v104, 0x39e9, v61
	v_fma_f16 v105, v103, s27, v104
	v_fma_f16 v104, v103, s23, v104
	v_mul_f16_e32 v106, 0x2de8, v61
	v_add_f16_e32 v104, v104, v108
	v_fma_f16 v107, v103, s19, v106
	v_fma_f16 v106, v103, s16, v106
	v_mul_f16_e32 v108, 0xb8d2, v61
	v_add_f16_e32 v105, v105, v109
	v_add_f16_e32 v106, v106, v110
	v_fma_f16 v109, v103, s25, v108
	v_fma_f16 v108, v103, s21, v108
	v_mul_f16_e32 v110, 0xbbdd, v61
	v_add_f16_e32 v107, v107, v112
	v_add_f16_e32 v108, v108, v113
	v_fma_f16 v112, v103, s31, v110
	v_fma_f16 v110, v103, s30, v110
	v_mul_f16_e32 v113, 0xbacd, v61
	v_add_f16_e32 v109, v109, v114
	v_add_f16_e32 v110, v110, v115
	v_fma_f16 v114, v103, s24, v113
	v_fma_f16 v113, v103, s28, v113
	v_mul_f16_e32 v115, 0xb461, v61
	v_add_f16_e32 v112, v112, v116
	v_add_f16_e32 v113, v113, v117
	v_fma_f16 v116, v103, s17, v115
	v_fma_f16 v115, v103, s20, v115
	v_mul_f16_e32 v117, 0x3722, v61
	v_mul_f16_e32 v61, 0x3b76, v61
	v_add_f16_e32 v115, v115, v119
	v_fma_f16 v119, v103, s26, v61
	v_fma_f16 v61, v103, s29, v61
	v_add_f16_e32 v42, v61, v42
	v_add_f16_e32 v61, v100, v102
	v_sub_f16_e32 v99, v99, v101
	v_mul_f16_e32 v100, 0x3722, v61
	v_fma_f16 v101, v99, s22, v100
	v_fma_f16 v100, v99, s18, v100
	v_mul_f16_e32 v102, 0xb8d2, v61
	v_add_f16_e32 v114, v114, v118
	v_fma_f16 v118, v103, s18, v117
	v_fma_f16 v117, v103, s22, v117
	v_add_f16_e32 v100, v100, v104
	v_fma_f16 v103, v99, s25, v102
	v_fma_f16 v102, v99, s21, v102
	v_mul_f16_e32 v104, 0xbbdd, v61
	v_add_f16_e32 v101, v101, v105
	v_add_f16_e32 v102, v102, v106
	v_fma_f16 v105, v99, s30, v104
	v_fma_f16 v104, v99, s31, v104
	v_mul_f16_e32 v106, 0xb461, v61
	v_add_f16_e32 v103, v103, v107
	v_add_f16_e32 v104, v104, v108
	v_fma_f16 v107, v99, s17, v106
	v_fma_f16 v106, v99, s20, v106
	v_mul_f16_e32 v108, 0x39e9, v61
	v_add_f16_e32 v105, v105, v109
	v_add_f16_e32 v106, v106, v110
	v_fma_f16 v109, v99, s23, v108
	v_fma_f16 v108, v99, s27, v108
	v_mul_f16_e32 v110, 0x3b76, v61
	v_add_f16_e32 v107, v107, v112
	v_add_f16_e32 v108, v108, v113
	v_fma_f16 v112, v99, s29, v110
	v_fma_f16 v110, v99, s26, v110
	v_mul_f16_e32 v113, 0x2de8, v61
	v_mul_f16_e32 v61, 0xbacd, v61
	v_add_f16_e32 v110, v110, v115
	v_fma_f16 v115, v99, s28, v61
	v_fma_f16 v61, v99, s24, v61
	v_add_f16_e32 v42, v61, v42
	v_add_f16_e32 v61, v96, v98
	v_sub_f16_e32 v95, v95, v97
	v_mul_f16_e32 v96, 0x2de8, v61
	v_fma_f16 v97, v95, s19, v96
	v_fma_f16 v96, v95, s16, v96
	v_mul_f16_e32 v98, 0xbbdd, v61
	v_add_f16_e32 v109, v109, v114
	v_fma_f16 v114, v99, s19, v113
	v_fma_f16 v113, v99, s16, v113
	;; [unrolled: 38-line block ×5, first 2 shown]
	v_add_f16_e32 v78, v78, v84
	v_fma_f16 v83, v77, s18, v80
	v_fma_f16 v80, v77, s22, v80
	v_mul_f16_e32 v84, 0x2de8, v61
	v_add_f16_e32 v79, v79, v85
	v_add_f16_e32 v80, v80, v86
	v_fma_f16 v85, v77, s19, v84
	v_fma_f16 v84, v77, s16, v84
	v_mul_f16_e32 v86, 0xb8d2, v61
	v_add_f16_e32 v83, v83, v89
	;; [unrolled: 5-line block ×4, first 2 shown]
	v_add_f16_e32 v89, v89, v95
	v_add_f16_e32 v90, v90, v96
	v_fma_f16 v95, v77, s31, v92
	v_fma_f16 v92, v77, s30, v92
	v_mul_f16_e32 v96, 0x39e9, v61
	v_mul_f16_e32 v61, 0xb461, v61
	v_add_f16_e32 v116, v116, v120
	v_add_f16_e32 v113, v113, v117
	;; [unrolled: 1-line block ×3, first 2 shown]
	v_fma_f16 v98, v77, s20, v61
	v_fma_f16 v61, v77, s17, v61
	v_add_f16_e32 v112, v112, v116
	v_add_f16_e32 v108, v108, v113
	;; [unrolled: 1-line block ×6, first 2 shown]
	v_sub_f16_e32 v70, v70, v72
	v_mul_f16_e32 v71, 0xbbdd, v61
	v_add_f16_e32 v103, v103, v107
	v_add_f16_e32 v100, v100, v104
	;; [unrolled: 1-line block ×3, first 2 shown]
	v_fma_f16 v97, v77, s23, v96
	v_fma_f16 v96, v77, s27, v96
	;; [unrolled: 1-line block ×4, first 2 shown]
	v_add_f16_e32 v99, v99, v103
	v_add_f16_e32 v96, v96, v100
	;; [unrolled: 1-line block ×3, first 2 shown]
	v_mul_f16_e32 v71, 0x3b76, v61
	v_add_f16_e32 v95, v95, v99
	v_add_f16_e32 v99, v72, v79
	v_fma_f16 v72, v70, s26, v71
	v_fma_f16 v71, v70, s29, v71
	v_add_f16_e32 v80, v71, v80
	v_mul_f16_e32 v71, 0xbacd, v61
	v_add_f16_e32 v83, v72, v83
	v_fma_f16 v72, v70, s28, v71
	v_fma_f16 v71, v70, s24, v71
	v_add_f16_e32 v84, v71, v84
	v_mul_f16_e32 v71, 0x39e9, v61
	;; [unrolled: 5-line block ×3, first 2 shown]
	v_add_f16_e32 v89, v72, v89
	v_fma_f16 v72, v70, s25, v71
	v_fma_f16 v71, v70, s21, v71
	v_add_f16_e32 v118, v118, v122
	v_add_f16_e32 v90, v71, v90
	v_mul_f16_e32 v71, 0x3722, v61
	v_add_f16_e32 v114, v114, v118
	v_add_f16_e32 v91, v72, v91
	v_fma_f16 v72, v70, s18, v71
	v_fma_f16 v71, v70, s22, v71
	v_add_f16_e32 v109, v109, v114
	v_add_f16_e32 v92, v71, v92
	v_mul_f16_e32 v71, 0xb461, v61
	v_add_f16_e32 v105, v105, v109
	v_add_f16_e32 v95, v72, v95
	v_fma_f16 v72, v70, s20, v71
	v_fma_f16 v71, v70, s17, v71
	v_mul_f16_e32 v61, 0x2de8, v61
	v_add_f16_e32 v101, v101, v105
	v_add_f16_e32 v96, v71, v96
	v_fma_f16 v71, v70, s16, v61
	v_fma_f16 v61, v70, s19, v61
	v_add_f16_e32 v97, v97, v101
	v_add_f16_e32 v101, v61, v42
	v_add_f16_e32 v42, v3, v76
	v_add_f16_e32 v42, v42, v69
	v_add_f16_e32 v42, v42, v63
	v_add_f16_e32 v42, v42, v58
	v_add_f16_e32 v42, v42, v56
	v_add_f16_e32 v42, v42, v52
	v_add_f16_e32 v42, v42, v50
	v_add_f16_e32 v42, v42, v46
	v_add_f16_e32 v42, v42, v49
	v_add_f16_e32 v42, v42, v55
	v_add_f16_e32 v119, v119, v123
	v_add_f16_e32 v42, v42, v60
	v_add_f16_e32 v115, v115, v119
	v_add_f16_e32 v42, v42, v66
	v_add_f16_e32 v110, v110, v115
	v_add_f16_e32 v42, v42, v75
	v_add_f16_e32 v106, v106, v110
	v_add_f16_e32 v42, v42, v82
	v_add_f16_e32 v102, v102, v106
	v_add_f16_e32 v42, v42, v88
	v_add_f16_e32 v98, v98, v102
	v_add_f16_e32 v102, v42, v94
	v_add_f16_e32 v42, v76, v94
	v_add_f16_e32 v98, v71, v98
	v_sub_f16_e32 v61, v64, v93
	v_mul_f16_e32 v64, 0x3b76, v42
	v_mul_f16_e32 v71, 0x39e9, v42
	;; [unrolled: 1-line block ×8, first 2 shown]
	v_add_f16_e32 v97, v72, v97
	v_fma_f16 v70, v61, s29, v64
	v_fma_f16 v64, v61, s26, v64
	;; [unrolled: 1-line block ×16, first 2 shown]
	v_add_f16_e32 v70, v3, v70
	v_add_f16_e32 v64, v3, v64
	;; [unrolled: 1-line block ×17, first 2 shown]
	v_sub_f16_e32 v61, v68, v87
	v_mul_f16_e32 v68, 0x39e9, v42
	v_fma_f16 v69, v61, s27, v68
	v_fma_f16 v68, v61, s23, v68
	v_add_f16_e32 v64, v68, v64
	v_mul_f16_e32 v68, 0x2de8, v42
	v_add_f16_e32 v69, v69, v70
	v_fma_f16 v70, v61, s19, v68
	v_fma_f16 v68, v61, s16, v68
	v_add_f16_e32 v68, v68, v71
	v_mul_f16_e32 v71, 0xb8d2, v42
	v_add_f16_e32 v70, v70, v72
	;; [unrolled: 5-line block ×4, first 2 shown]
	v_fma_f16 v78, v61, s24, v77
	v_fma_f16 v77, v61, s28, v77
	v_add_f16_e32 v77, v77, v79
	v_mul_f16_e32 v79, 0xb461, v42
	v_fma_f16 v87, v61, s17, v79
	v_fma_f16 v79, v61, s20, v79
	v_mul_f16_e32 v88, 0x3722, v42
	v_mul_f16_e32 v42, 0x3b76, v42
	v_add_f16_e32 v79, v79, v94
	v_fma_f16 v94, v61, s26, v42
	v_fma_f16 v42, v61, s29, v42
	v_add_f16_e32 v3, v42, v3
	v_add_f16_e32 v42, v63, v82
	;; [unrolled: 1-line block ×3, first 2 shown]
	v_fma_f16 v93, v61, s18, v88
	v_fma_f16 v88, v61, s22, v88
	v_sub_f16_e32 v61, v62, v81
	v_mul_f16_e32 v62, 0x3722, v42
	v_fma_f16 v63, v61, s22, v62
	v_fma_f16 v62, v61, s18, v62
	v_add_f16_e32 v62, v62, v64
	v_mul_f16_e32 v64, 0xb8d2, v42
	v_add_f16_e32 v63, v63, v69
	v_fma_f16 v69, v61, s25, v64
	v_fma_f16 v64, v61, s21, v64
	v_add_f16_e32 v64, v64, v68
	v_mul_f16_e32 v68, 0xbbdd, v42
	v_add_f16_e32 v69, v69, v70
	;; [unrolled: 5-line block ×5, first 2 shown]
	v_fma_f16 v78, v61, s29, v77
	v_fma_f16 v77, v61, s26, v77
	v_add_f16_e32 v77, v77, v79
	v_mul_f16_e32 v79, 0x2de8, v42
	v_mul_f16_e32 v42, 0xbacd, v42
	v_fma_f16 v82, v61, s28, v42
	v_fma_f16 v42, v61, s24, v42
	v_add_f16_e32 v3, v42, v3
	v_add_f16_e32 v42, v58, v75
	v_sub_f16_e32 v57, v57, v74
	v_mul_f16_e32 v58, 0x2de8, v42
	v_fma_f16 v81, v61, s19, v79
	v_fma_f16 v79, v61, s16, v79
	;; [unrolled: 1-line block ×4, first 2 shown]
	v_add_f16_e32 v58, v58, v62
	v_mul_f16_e32 v62, 0xbbdd, v42
	v_add_f16_e32 v61, v61, v63
	v_fma_f16 v63, v57, s31, v62
	v_fma_f16 v62, v57, s30, v62
	v_add_f16_e32 v62, v62, v64
	v_mul_f16_e32 v64, 0xb461, v42
	v_add_f16_e32 v63, v63, v69
	v_fma_f16 v69, v57, s17, v64
	v_fma_f16 v64, v57, s20, v64
	;; [unrolled: 5-line block ×4, first 2 shown]
	v_add_f16_e32 v71, v71, v73
	v_mul_f16_e32 v73, 0xbacd, v42
	v_fma_f16 v74, v57, s28, v73
	v_fma_f16 v73, v57, s24, v73
	v_mul_f16_e32 v75, 0xb8d2, v42
	v_mul_f16_e32 v42, 0x39e9, v42
	v_add_f16_e32 v73, v73, v77
	v_fma_f16 v77, v57, s23, v42
	v_fma_f16 v42, v57, s27, v42
	v_add_f16_e32 v3, v42, v3
	v_add_f16_e32 v42, v56, v66
	v_sub_f16_e32 v53, v53, v65
	v_mul_f16_e32 v56, 0xb461, v42
	v_add_f16_e32 v72, v72, v76
	v_fma_f16 v76, v57, s21, v75
	v_fma_f16 v75, v57, s25, v75
	;; [unrolled: 1-line block ×4, first 2 shown]
	v_add_f16_e32 v56, v56, v58
	v_mul_f16_e32 v58, 0xbacd, v42
	v_add_f16_e32 v57, v57, v61
	v_fma_f16 v61, v53, s24, v58
	v_fma_f16 v58, v53, s28, v58
	v_add_f16_e32 v58, v58, v62
	v_mul_f16_e32 v62, 0x39e9, v42
	v_add_f16_e32 v61, v61, v63
	v_fma_f16 v63, v53, s23, v62
	v_fma_f16 v62, v53, s27, v62
	v_add_f16_e32 v62, v62, v64
	v_mul_f16_e32 v64, 0x3722, v42
	v_fma_f16 v65, v53, s22, v64
	v_fma_f16 v64, v53, s18, v64
	v_mul_f16_e32 v66, 0xbbdd, v42
	v_add_f16_e32 v63, v63, v69
	v_add_f16_e32 v64, v64, v68
	v_fma_f16 v68, v53, s31, v66
	v_fma_f16 v66, v53, s30, v66
	v_mul_f16_e32 v69, 0x2de8, v42
	v_add_f16_e32 v65, v65, v70
	v_add_f16_e32 v66, v66, v71
	v_fma_f16 v70, v53, s16, v69
	v_fma_f16 v69, v53, s19, v69
	v_mul_f16_e32 v71, 0x3b76, v42
	v_mul_f16_e32 v42, 0xb8d2, v42
	v_add_f16_e32 v69, v69, v73
	v_fma_f16 v73, v53, s25, v42
	v_fma_f16 v42, v53, s21, v42
	v_add_f16_e32 v3, v42, v3
	v_add_f16_e32 v42, v52, v60
	v_sub_f16_e32 v51, v51, v59
	v_mul_f16_e32 v52, 0xb8d2, v42
	v_add_f16_e32 v68, v68, v72
	v_fma_f16 v72, v53, s29, v71
	v_fma_f16 v71, v53, s26, v71
	;; [unrolled: 1-line block ×4, first 2 shown]
	v_add_f16_e32 v52, v52, v56
	v_mul_f16_e32 v56, 0xb461, v42
	v_add_f16_e32 v53, v53, v57
	v_fma_f16 v57, v51, s17, v56
	v_fma_f16 v56, v51, s20, v56
	v_add_f16_e32 v56, v56, v58
	v_mul_f16_e32 v58, 0x3b76, v42
	v_fma_f16 v59, v51, s29, v58
	v_fma_f16 v58, v51, s26, v58
	v_mul_f16_e32 v60, 0xbacd, v42
	v_add_f16_e32 v57, v57, v61
	v_add_f16_e32 v58, v58, v62
	v_fma_f16 v61, v51, s28, v60
	v_fma_f16 v60, v51, s24, v60
	v_mul_f16_e32 v62, 0x2de8, v42
	v_add_f16_e32 v59, v59, v63
	v_add_f16_e32 v60, v60, v64
	;; [unrolled: 5-line block ×3, first 2 shown]
	v_fma_f16 v65, v51, s27, v64
	v_fma_f16 v64, v51, s23, v64
	v_mul_f16_e32 v66, 0xbbdd, v42
	v_mul_f16_e32 v42, 0x3722, v42
	v_add_f16_e32 v64, v64, v69
	v_fma_f16 v69, v51, s18, v42
	v_fma_f16 v42, v51, s22, v42
	v_add_f16_e32 v3, v42, v3
	v_add_f16_e32 v42, v50, v55
	v_sub_f16_e32 v48, v48, v54
	v_mul_f16_e32 v50, 0xbacd, v42
	v_add_f16_e32 v63, v63, v68
	v_fma_f16 v68, v51, s31, v66
	v_fma_f16 v66, v51, s30, v66
	;; [unrolled: 1-line block ×4, first 2 shown]
	v_add_f16_e32 v50, v50, v52
	v_mul_f16_e32 v52, 0x3722, v42
	v_add_f16_e32 v51, v51, v53
	v_fma_f16 v53, v48, s18, v52
	v_fma_f16 v52, v48, s22, v52
	v_mul_f16_e32 v54, 0x2de8, v42
	v_add_f16_e32 v52, v52, v56
	v_fma_f16 v55, v48, s19, v54
	v_fma_f16 v54, v48, s16, v54
	v_mul_f16_e32 v56, 0xb8d2, v42
	v_add_f16_e32 v53, v53, v57
	v_add_f16_e32 v54, v54, v58
	v_fma_f16 v57, v48, s21, v56
	v_fma_f16 v56, v48, s25, v56
	v_mul_f16_e32 v58, 0x3b76, v42
	v_add_f16_e32 v55, v55, v59
	;; [unrolled: 5-line block ×3, first 2 shown]
	v_add_f16_e32 v58, v58, v62
	v_fma_f16 v61, v48, s31, v60
	v_fma_f16 v60, v48, s30, v60
	v_mul_f16_e32 v62, 0x39e9, v42
	v_mul_f16_e32 v42, 0xb461, v42
	v_add_f16_e32 v60, v60, v64
	v_fma_f16 v64, v48, s20, v42
	v_fma_f16 v42, v48, s17, v42
	v_add_f16_e32 v3, v42, v3
	v_add_f16_e32 v42, v46, v49
	;; [unrolled: 1-line block ×3, first 2 shown]
	v_sub_f16_e32 v45, v45, v47
	v_mul_f16_e32 v46, 0xbbdd, v42
	v_add_f16_e32 v93, v93, v105
	v_add_f16_e32 v82, v82, v94
	v_fma_f16 v47, v45, s31, v46
	v_fma_f16 v46, v45, s30, v46
	v_add_f16_e32 v81, v81, v93
	v_add_f16_e32 v77, v77, v82
	;; [unrolled: 1-line block ×3, first 2 shown]
	v_mul_f16_e32 v46, 0x3b76, v42
	v_add_f16_e32 v88, v88, v104
	v_add_f16_e32 v76, v76, v81
	;; [unrolled: 1-line block ×3, first 2 shown]
	v_fma_f16 v47, v45, s26, v46
	v_fma_f16 v46, v45, s29, v46
	v_add_f16_e32 v87, v87, v103
	v_add_f16_e32 v79, v79, v88
	;; [unrolled: 1-line block ×3, first 2 shown]
	v_mul_f16_e32 v46, 0xbacd, v42
	v_add_f16_e32 v78, v78, v87
	v_add_f16_e32 v87, v47, v53
	v_fma_f16 v47, v45, s28, v46
	v_fma_f16 v46, v45, s24, v46
	v_add_f16_e32 v94, v46, v54
	v_mul_f16_e32 v46, 0x39e9, v42
	v_add_f16_e32 v93, v47, v55
	v_fma_f16 v47, v45, s23, v46
	v_fma_f16 v46, v45, s27, v46
	v_add_f16_e32 v104, v46, v56
	v_mul_f16_e32 v46, 0xb8d2, v42
	v_add_f16_e32 v74, v74, v78
	v_add_f16_e32 v103, v47, v57
	v_fma_f16 v47, v45, s25, v46
	v_fma_f16 v46, v45, s21, v46
	v_add_f16_e32 v75, v75, v79
	v_add_f16_e32 v70, v70, v74
	;; [unrolled: 1-line block ×4, first 2 shown]
	v_mul_f16_e32 v46, 0x3722, v42
	v_add_f16_e32 v71, v71, v75
	v_add_f16_e32 v65, v65, v70
	;; [unrolled: 1-line block ×3, first 2 shown]
	v_fma_f16 v47, v45, s18, v46
	v_fma_f16 v46, v45, s22, v46
	v_add_f16_e32 v72, v72, v76
	v_add_f16_e32 v73, v73, v77
	;; [unrolled: 1-line block ×4, first 2 shown]
	v_fma_f16 v63, v48, s23, v62
	v_fma_f16 v62, v48, s27, v62
	v_add_f16_e32 v108, v46, v60
	v_mul_f16_e32 v46, 0xb461, v42
	v_add_f16_e32 v68, v68, v72
	v_add_f16_e32 v69, v69, v73
	;; [unrolled: 1-line block ×4, first 2 shown]
	v_fma_f16 v47, v45, s20, v46
	v_fma_f16 v46, v45, s17, v46
	v_mul_f16_e32 v42, 0x2de8, v42
	v_add_f16_e32 v63, v63, v68
	v_add_f16_e32 v64, v64, v69
	v_add_f16_e32 v110, v46, v62
	v_fma_f16 v46, v45, s16, v42
	v_fma_f16 v42, v45, s19, v42
	v_add_f16_e32 v109, v47, v63
	v_add_f16_e32 v112, v46, v64
	;; [unrolled: 1-line block ×3, first 2 shown]
	s_waitcnt lgkmcnt(0)
	; wave barrier
	s_waitcnt lgkmcnt(0)
	ds_read_u16 v51, v10 offset:510
	ds_read_u16 v50, v10 offset:748
	;; [unrolled: 1-line block ×6, first 2 shown]
	ds_read_u16 v42, v5
	ds_read_u16 v47, v10 offset:34
	ds_read_u16 v54, v10 offset:68
	;; [unrolled: 1-line block ×28, first 2 shown]
	s_waitcnt lgkmcnt(0)
	; wave barrier
	s_waitcnt lgkmcnt(0)
	ds_write_b16 v111, v8
	ds_write_b16 v111, v99 offset:14
	ds_write_b16 v111, v83 offset:28
	;; [unrolled: 1-line block ×16, first 2 shown]
	ds_write_b16 v67, v102
	ds_write_b16 v67, v81 offset:14
	ds_write_b16 v67, v87 offset:28
	;; [unrolled: 1-line block ×16, first 2 shown]
	s_and_saveexec_b64 s[4:5], s[0:1]
	s_cbranch_execz .LBB0_18
; %bb.17:
	v_add_f16_e32 v3, v1, v39
	v_add_f16_e32 v3, v3, v35
	;; [unrolled: 1-line block ×17, first 2 shown]
	v_sub_f16_e32 v38, v38, v43
	v_mul_f16_e32 v39, 0x3b76, v8
	s_movk_i32 s11, 0x35c8
	s_mov_b32 s13, 0xb5c8
	v_mul_f16_e32 v44, 0x39e9, v8
	s_movk_i32 s7, 0x3964
	s_mov_b32 s12, 0xb964
	v_mul_f16_e32 v80, 0x3722, v8
	s_movk_i32 s1, 0x3b29
	s_mov_b32 s10, 0xbb29
	v_mul_f16_e32 v82, 0x2de8, v8
	s_movk_i32 s0, 0x3bf7
	s_mov_b32 s6, 0xbbf7
	v_mul_f16_e32 v84, 0xb461, v8
	s_movk_i32 s14, 0x3bb2
	s_mov_b32 s15, 0xbbb2
	v_mul_f16_e32 v86, 0xb8d2, v8
	s_movk_i32 s16, 0x3a62
	s_mov_b32 s17, 0xba62
	v_mul_f16_e32 v88, 0xbacd, v8
	s_movk_i32 s18, 0x3836
	s_mov_b32 s19, 0xb836
	v_mul_f16_e32 v8, 0xbbdd, v8
	s_movk_i32 s20, 0x31e1
	s_mov_b32 s21, 0xb1e1
	v_fma_f16 v43, v38, s11, v39
	v_fma_f16 v39, v38, s13, v39
	;; [unrolled: 1-line block ×16, first 2 shown]
	v_add_f16_e32 v43, v1, v43
	v_add_f16_e32 v39, v1, v39
	;; [unrolled: 1-line block ×17, first 2 shown]
	v_sub_f16_e32 v34, v34, v40
	v_mul_f16_e32 v35, 0x39e9, v8
	v_fma_f16 v38, v34, s7, v35
	v_fma_f16 v35, v34, s12, v35
	v_add_f16_e32 v35, v35, v39
	v_mul_f16_e32 v39, 0x2de8, v8
	v_fma_f16 v40, v34, s0, v39
	v_fma_f16 v39, v34, s6, v39
	v_mul_f16_e32 v41, 0xb8d2, v8
	v_add_f16_e32 v38, v38, v43
	v_add_f16_e32 v39, v39, v44
	v_fma_f16 v43, v34, s16, v41
	v_fma_f16 v41, v34, s17, v41
	v_mul_f16_e32 v44, 0xbbdd, v8
	v_add_f16_e32 v40, v40, v67
	v_add_f16_e32 v41, v41, v80
	v_fma_f16 v67, v34, s20, v44
	v_fma_f16 v44, v34, s21, v44
	v_mul_f16_e32 v80, 0xbacd, v8
	v_add_f16_e32 v43, v43, v81
	v_add_f16_e32 v44, v44, v82
	v_fma_f16 v81, v34, s19, v80
	v_fma_f16 v80, v34, s18, v80
	v_mul_f16_e32 v82, 0xb461, v8
	v_add_f16_e32 v67, v67, v83
	v_add_f16_e32 v80, v80, v84
	v_fma_f16 v83, v34, s15, v82
	v_fma_f16 v82, v34, s14, v82
	v_mul_f16_e32 v84, 0x3722, v8
	v_mul_f16_e32 v8, 0x3b76, v8
	v_add_f16_e32 v82, v82, v86
	v_fma_f16 v86, v34, s13, v8
	v_fma_f16 v8, v34, s11, v8
	v_add_f16_e32 v1, v8, v1
	v_add_f16_e32 v8, v31, v37
	v_sub_f16_e32 v30, v30, v36
	v_mul_f16_e32 v31, 0x3722, v8
	v_add_f16_e32 v81, v81, v85
	v_fma_f16 v85, v34, s10, v84
	v_fma_f16 v84, v34, s1, v84
	v_fma_f16 v34, v30, s1, v31
	v_fma_f16 v31, v30, s10, v31
	v_add_f16_e32 v31, v31, v35
	v_mul_f16_e32 v35, 0xb8d2, v8
	v_fma_f16 v36, v30, s16, v35
	v_fma_f16 v35, v30, s17, v35
	v_mul_f16_e32 v37, 0xbbdd, v8
	v_add_f16_e32 v34, v34, v38
	v_add_f16_e32 v35, v35, v39
	v_fma_f16 v38, v30, s21, v37
	v_fma_f16 v37, v30, s20, v37
	v_mul_f16_e32 v39, 0xb461, v8
	v_add_f16_e32 v36, v36, v40
	v_add_f16_e32 v37, v37, v41
	v_fma_f16 v40, v30, s15, v39
	v_fma_f16 v39, v30, s14, v39
	v_mul_f16_e32 v41, 0x39e9, v8
	v_add_f16_e32 v38, v38, v43
	v_add_f16_e32 v39, v39, v44
	v_fma_f16 v43, v30, s12, v41
	v_fma_f16 v41, v30, s7, v41
	v_mul_f16_e32 v44, 0x3b76, v8
	v_add_f16_e32 v40, v40, v67
	v_add_f16_e32 v41, v41, v80
	v_fma_f16 v67, v30, s11, v44
	v_fma_f16 v44, v30, s13, v44
	v_mul_f16_e32 v80, 0x2de8, v8
	v_mul_f16_e32 v8, 0xbacd, v8
	v_add_f16_e32 v44, v44, v82
	v_fma_f16 v82, v30, s18, v8
	v_fma_f16 v8, v30, s19, v8
	v_add_f16_e32 v1, v8, v1
	v_add_f16_e32 v8, v27, v33
	v_sub_f16_e32 v26, v26, v32
	v_mul_f16_e32 v27, 0x2de8, v8
	v_add_f16_e32 v43, v43, v81
	v_fma_f16 v81, v30, s0, v80
	v_fma_f16 v80, v30, s6, v80
	;; [unrolled: 38-line block ×3, first 2 shown]
	v_fma_f16 v26, v24, s14, v25
	v_fma_f16 v25, v24, s15, v25
	v_add_f16_e32 v25, v25, v27
	v_mul_f16_e32 v27, 0xbacd, v8
	v_fma_f16 v28, v24, s19, v27
	v_fma_f16 v27, v24, s18, v27
	v_mul_f16_e32 v29, 0x39e9, v8
	v_add_f16_e32 v26, v26, v30
	v_add_f16_e32 v27, v27, v31
	v_fma_f16 v30, v24, s12, v29
	v_fma_f16 v29, v24, s7, v29
	v_mul_f16_e32 v31, 0x3722, v8
	v_add_f16_e32 v28, v28, v32
	v_add_f16_e32 v29, v29, v33
	v_fma_f16 v32, v24, s1, v31
	v_fma_f16 v31, v24, s10, v31
	v_mul_f16_e32 v33, 0xbbdd, v8
	v_add_f16_e32 v30, v30, v34
	v_add_f16_e32 v31, v31, v35
	v_fma_f16 v34, v24, s20, v33
	v_fma_f16 v33, v24, s21, v33
	v_mul_f16_e32 v35, 0x2de8, v8
	v_add_f16_e32 v32, v32, v36
	v_add_f16_e32 v33, v33, v37
	v_fma_f16 v36, v24, s6, v35
	v_fma_f16 v35, v24, s0, v35
	v_mul_f16_e32 v37, 0x3b76, v8
	v_mul_f16_e32 v8, 0xb8d2, v8
	v_add_f16_e32 v35, v35, v39
	v_fma_f16 v39, v24, s16, v8
	v_fma_f16 v8, v24, s17, v8
	v_add_f16_e32 v1, v8, v1
	v_add_f16_e32 v8, v21, v23
	v_sub_f16_e32 v20, v20, v22
	v_mul_f16_e32 v21, 0xb8d2, v8
	v_fma_f16 v22, v20, s16, v21
	v_fma_f16 v21, v20, s17, v21
	v_mul_f16_e32 v23, 0xb461, v8
	v_add_f16_e32 v34, v34, v38
	v_fma_f16 v38, v24, s11, v37
	v_fma_f16 v37, v24, s13, v37
	v_add_f16_e32 v21, v21, v25
	v_fma_f16 v24, v20, s15, v23
	v_fma_f16 v23, v20, s14, v23
	v_mul_f16_e32 v25, 0x3b76, v8
	v_add_f16_e32 v22, v22, v26
	v_add_f16_e32 v23, v23, v27
	v_fma_f16 v26, v20, s11, v25
	v_fma_f16 v25, v20, s13, v25
	v_mul_f16_e32 v27, 0xbacd, v8
	v_add_f16_e32 v24, v24, v28
	v_add_f16_e32 v25, v25, v29
	v_fma_f16 v28, v20, s18, v27
	v_fma_f16 v27, v20, s19, v27
	v_mul_f16_e32 v29, 0x2de8, v8
	v_add_f16_e32 v26, v26, v30
	v_add_f16_e32 v27, v27, v31
	v_fma_f16 v30, v20, s6, v29
	v_fma_f16 v29, v20, s0, v29
	v_mul_f16_e32 v31, 0x39e9, v8
	v_add_f16_e32 v28, v28, v32
	v_add_f16_e32 v29, v29, v33
	v_fma_f16 v32, v20, s7, v31
	v_fma_f16 v31, v20, s12, v31
	v_mul_f16_e32 v33, 0xbbdd, v8
	v_mul_f16_e32 v8, 0x3722, v8
	v_add_f16_e32 v31, v31, v35
	v_fma_f16 v35, v20, s10, v8
	v_fma_f16 v8, v20, s1, v8
	v_add_f16_e32 v1, v8, v1
	v_add_f16_e32 v8, v17, v19
	v_sub_f16_e32 v16, v16, v18
	v_mul_f16_e32 v17, 0xbacd, v8
	v_fma_f16 v18, v16, s18, v17
	v_fma_f16 v17, v16, s19, v17
	v_mul_f16_e32 v19, 0x3722, v8
	v_add_f16_e32 v30, v30, v34
	v_fma_f16 v34, v20, s20, v33
	v_fma_f16 v33, v20, s21, v33
	v_add_f16_e32 v17, v17, v21
	;; [unrolled: 38-line block ×3, first 2 shown]
	v_fma_f16 v16, v9, s13, v15
	v_fma_f16 v15, v9, s11, v15
	v_mul_f16_e32 v17, 0xbacd, v8
	v_add_f16_e32 v14, v14, v18
	v_add_f16_e32 v15, v15, v19
	v_fma_f16 v18, v9, s18, v17
	v_fma_f16 v17, v9, s19, v17
	v_mul_f16_e32 v19, 0x39e9, v8
	v_add_f16_e32 v16, v16, v20
	v_add_f16_e32 v17, v17, v21
	;; [unrolled: 5-line block ×3, first 2 shown]
	v_add_f16_e32 v84, v84, v88
	v_add_f16_e32 v86, v86, v90
	;; [unrolled: 1-line block ×4, first 2 shown]
	v_fma_f16 v22, v9, s16, v21
	v_fma_f16 v21, v9, s17, v21
	v_mul_f16_e32 v23, 0x3722, v8
	v_add_f16_e32 v67, v67, v83
	v_add_f16_e32 v81, v81, v85
	;; [unrolled: 1-line block ×6, first 2 shown]
	v_fma_f16 v24, v9, s10, v23
	v_fma_f16 v23, v9, s1, v23
	v_mul_f16_e32 v25, 0xb461, v8
	v_mul_f16_e32 v8, 0x2de8, v8
	v_add_f16_e32 v40, v40, v67
	v_add_f16_e32 v43, v43, v81
	v_add_f16_e32 v41, v41, v80
	v_add_f16_e32 v44, v44, v82
	v_add_f16_e32 v23, v23, v27
	v_fma_f16 v27, v9, s6, v8
	v_fma_f16 v8, v9, s0, v8
	v_add_f16_e32 v36, v36, v40
	v_add_f16_e32 v38, v38, v43
	;; [unrolled: 1-line block ×5, first 2 shown]
	v_mov_b32_e32 v8, 1
	v_add_f16_e32 v32, v32, v36
	v_add_f16_e32 v34, v34, v38
	;; [unrolled: 1-line block ×4, first 2 shown]
	v_lshlrev_b32_sdwa v2, v8, v2 dst_sel:DWORD dst_unused:UNUSED_PAD src0_sel:DWORD src1_sel:BYTE_0
	v_add_f16_e32 v28, v28, v32
	v_add_f16_e32 v30, v30, v34
	;; [unrolled: 1-line block ×5, first 2 shown]
	v_fma_f16 v26, v9, s14, v25
	v_fma_f16 v25, v9, s15, v25
	v_add3_u32 v0, 0, v2, v0
	v_add_f16_e32 v24, v24, v28
	v_add_f16_e32 v26, v26, v30
	;; [unrolled: 1-line block ×4, first 2 shown]
	ds_write_b16 v0, v3 offset:952
	ds_write_b16 v0, v14 offset:966
	;; [unrolled: 1-line block ×17, first 2 shown]
.LBB0_18:
	s_or_b64 exec, exec, s[4:5]
	s_waitcnt lgkmcnt(0)
	; wave barrier
	s_waitcnt lgkmcnt(0)
	s_and_saveexec_b64 s[0:1], vcc
	s_cbranch_execz .LBB0_20
; %bb.19:
	v_add_u32_e32 v13, 0x66, v4
	v_lshlrev_b32_e32 v8, 2, v13
	v_mov_b32_e32 v9, 0
	v_lshlrev_b64 v[0:1], 2, v[8:9]
	v_mov_b32_e32 v17, s9
	v_add_co_u32_e32 v0, vcc, s8, v0
	v_addc_co_u32_e32 v1, vcc, v17, v1, vcc
	global_load_dwordx4 v[0:3], v[0:1], off offset:448
	v_add_u32_e32 v14, 0x55, v4
	v_lshlrev_b32_e32 v8, 2, v14
	v_lshlrev_b64 v[18:19], 2, v[8:9]
	ds_read_u16 v27, v10 offset:782
	ds_read_u16 v29, v10 offset:748
	;; [unrolled: 1-line block ×13, first 2 shown]
	v_add_co_u32_e32 v18, vcc, s8, v18
	v_addc_co_u32_e32 v19, vcc, v17, v19, vcc
	global_load_dwordx4 v[34:37], v[18:19], off offset:448
	ds_read_u16 v81, v10 offset:238
	ds_read_u16 v8, v10 offset:204
	;; [unrolled: 1-line block ×7, first 2 shown]
	s_movk_i32 s5, 0x3b9c
	s_mov_b32 s1, 0xb8b4
	s_movk_i32 s4, 0x34f2
	s_movk_i32 s6, 0x38b4
	s_mov_b32 s0, 0xbb9c
	v_add_u32_e32 v15, 0x44, v4
	v_add_u32_e32 v16, 51, v4
	ds_read_u16 v5, v5
	s_waitcnt vmcnt(1)
	v_mul_f16_sdwa v18, v76, v0 dst_sel:DWORD dst_unused:UNUSED_PAD src0_sel:DWORD src1_sel:WORD_1
	v_mul_f16_sdwa v23, v77, v1 dst_sel:DWORD dst_unused:UNUSED_PAD src0_sel:DWORD src1_sel:WORD_1
	v_mul_f16_sdwa v24, v79, v3 dst_sel:DWORD dst_unused:UNUSED_PAD src0_sel:DWORD src1_sel:WORD_1
	v_mul_f16_sdwa v25, v78, v2 dst_sel:DWORD dst_unused:UNUSED_PAD src0_sel:DWORD src1_sel:WORD_1
	s_waitcnt lgkmcnt(2)
	v_mul_f16_sdwa v38, v19, v0 dst_sel:DWORD dst_unused:UNUSED_PAD src0_sel:DWORD src1_sel:WORD_1
	v_mul_f16_sdwa v39, v21, v3 dst_sel:DWORD dst_unused:UNUSED_PAD src0_sel:DWORD src1_sel:WORD_1
	;; [unrolled: 1-line block ×4, first 2 shown]
	v_fma_f16 v18, v19, v0, -v18
	v_fma_f16 v19, v20, v1, -v23
	;; [unrolled: 1-line block ×4, first 2 shown]
	v_fma_f16 v23, v79, v3, v39
	v_fma_f16 v25, v78, v2, v41
	v_add_f16_e32 v2, v19, v21
	v_sub_f16_e32 v78, v19, v18
	v_sub_f16_e32 v79, v21, v20
	v_add_f16_e32 v84, v18, v20
	v_fma_f16 v88, v2, -0.5, v8
	v_add_f16_e32 v78, v78, v79
	v_fma_f16 v79, v84, -0.5, v8
	v_add_f16_e32 v8, v18, v8
	v_add_f16_e32 v8, v19, v8
	v_fma_f16 v22, v76, v0, v38
	v_add_f16_e32 v8, v21, v8
	v_fma_f16 v24, v77, v1, v40
	v_sub_f16_e32 v0, v18, v19
	v_sub_f16_e32 v76, v18, v20
	v_add_f16_e32 v18, v20, v8
	v_add_f16_e32 v8, v75, v22
	;; [unrolled: 1-line block ×3, first 2 shown]
	v_sub_f16_e32 v39, v24, v25
	v_add_f16_e32 v8, v8, v25
	v_sub_f16_e32 v1, v20, v21
	v_sub_f16_e32 v38, v22, v23
	v_add_f16_e32 v20, v23, v8
	v_fma_f16 v8, v39, s5, v79
	v_sub_f16_e32 v3, v22, v24
	v_sub_f16_e32 v40, v23, v25
	v_fma_f16 v8, v38, s1, v8
	v_sub_f16_e32 v77, v19, v21
	v_sub_f16_e32 v85, v24, v22
	;; [unrolled: 1-line block ×3, first 2 shown]
	v_add_f16_e32 v40, v3, v40
	v_add_f16_e32 v3, v22, v23
	v_fma_f16 v19, v78, s4, v8
	v_fma_f16 v8, v38, s5, v88
	v_add_f16_e32 v87, v0, v1
	v_add_f16_e32 v84, v85, v86
	v_fma_f16 v85, v3, -0.5, v75
	v_fma_f16 v8, v39, s6, v8
	v_add_f16_e32 v41, v24, v25
	v_fma_f16 v22, v87, s4, v8
	v_fma_f16 v8, v77, s0, v85
	v_fma_f16 v41, v41, -0.5, v75
	ds_read_u16 v75, v10 offset:374
	v_fma_f16 v8, v76, s6, v8
	v_fma_f16 v21, v84, s4, v8
	;; [unrolled: 1-line block ×6, first 2 shown]
	s_waitcnt vmcnt(0)
	v_mul_f16_sdwa v8, v73, v34 dst_sel:DWORD dst_unused:UNUSED_PAD src0_sel:DWORD src1_sel:WORD_1
	v_fma_f16 v1, v76, s5, v41
	v_fma_f16 v3, v76, s1, v3
	s_waitcnt lgkmcnt(2)
	v_fma_f16 v76, v32, v34, -v8
	v_lshlrev_b32_e32 v8, 2, v15
	v_lshlrev_b64 v[24:25], 2, v[8:9]
	v_fma_f16 v0, v38, s0, v88
	v_add_co_u32_e32 v24, vcc, s8, v24
	v_fma_f16 v2, v39, s0, v79
	v_fma_f16 v1, v77, s6, v1
	v_addc_co_u32_e32 v25, vcc, v17, v25, vcc
	v_fma_f16 v0, v39, s1, v0
	v_fma_f16 v2, v38, s6, v2
	;; [unrolled: 1-line block ×3, first 2 shown]
	global_load_dwordx4 v[38:41], v[24:25], off offset:448
	v_mul_f16_sdwa v25, v74, v37 dst_sel:DWORD dst_unused:UNUSED_PAD src0_sel:DWORD src1_sel:WORD_1
	v_mul_f16_sdwa v77, v71, v35 dst_sel:DWORD dst_unused:UNUSED_PAD src0_sel:DWORD src1_sel:WORD_1
	v_fma_f16 v79, v28, v37, -v25
	v_mul_f16_sdwa v25, v72, v36 dst_sel:DWORD dst_unused:UNUSED_PAD src0_sel:DWORD src1_sel:WORD_1
	v_fma_f16 v8, v26, v35, -v77
	v_fma_f16 v85, v30, v36, -v25
	v_sub_f16_e32 v24, v76, v8
	v_sub_f16_e32 v25, v79, v85
	v_add_f16_e32 v86, v24, v25
	v_add_f16_e32 v24, v8, v85
	v_fma_f16 v88, v24, -0.5, v31
	v_mul_f16_sdwa v24, v32, v34 dst_sel:DWORD dst_unused:UNUSED_PAD src0_sel:DWORD src1_sel:WORD_1
	v_mul_f16_sdwa v25, v26, v35 dst_sel:DWORD dst_unused:UNUSED_PAD src0_sel:DWORD src1_sel:WORD_1
	v_fma_f16 v32, v73, v34, v24
	v_mul_f16_sdwa v24, v28, v37 dst_sel:DWORD dst_unused:UNUSED_PAD src0_sel:DWORD src1_sel:WORD_1
	v_fma_f16 v35, v71, v35, v25
	;; [unrolled: 2-line block ×3, first 2 shown]
	v_fma_f16 v36, v72, v36, v25
	v_sub_f16_e32 v25, v32, v35
	v_sub_f16_e32 v26, v34, v36
	v_add_f16_e32 v74, v25, v26
	v_sub_f16_e32 v26, v8, v76
	v_sub_f16_e32 v28, v85, v79
	v_add_f16_e32 v72, v26, v28
	;; [unrolled: 3-line block ×3, first 2 shown]
	v_add_f16_e32 v30, v76, v31
	v_sub_f16_e32 v91, v8, v85
	v_add_f16_e32 v8, v8, v30
	v_add_f16_e32 v8, v85, v8
	;; [unrolled: 1-line block ×6, first 2 shown]
	v_sub_f16_e32 v71, v35, v36
	v_fma_f16 v73, v26, -0.5, v31
	v_add_f16_e32 v8, v8, v36
	v_sub_f16_e32 v37, v32, v34
	v_add_f16_e32 v28, v32, v34
	v_add_f16_e32 v32, v34, v8
	v_fma_f16 v8, v71, s0, v73
	v_fma_f16 v8, v37, s6, v8
	;; [unrolled: 1-line block ×4, first 2 shown]
	v_fma_f16 v93, v28, -0.5, v70
	v_fma_f16 v8, v71, s6, v8
	v_sub_f16_e32 v90, v76, v79
	ds_read_u16 v76, v10 offset:340
	v_fma_f16 v34, v86, s4, v8
	v_fma_f16 v8, v91, s5, v93
	;; [unrolled: 1-line block ×3, first 2 shown]
	v_add_f16_e32 v25, v35, v36
	v_fma_f16 v26, v71, s5, v73
	v_fma_f16 v35, v92, s4, v8
	v_lshlrev_b32_e32 v8, 2, v16
	v_fma_f16 v24, v37, s0, v88
	v_fma_f16 v26, v37, s1, v26
	v_lshlrev_b64 v[36:37], 2, v[8:9]
	v_fma_f16 v24, v71, s1, v24
	v_add_co_u32_e32 v36, vcc, s8, v36
	v_addc_co_u32_e32 v37, vcc, v17, v37, vcc
	v_fma_f16 v89, v25, -0.5, v70
	v_fma_f16 v26, v72, s4, v26
	global_load_dwordx4 v[70:73], v[36:37], off offset:448
	v_fma_f16 v2, v78, s4, v2
	v_fma_f16 v3, v84, s4, v3
	ds_read_u16 v78, v10 offset:612
	ds_read_u16 v88, v10 offset:816
	;; [unrolled: 1-line block ×4, first 2 shown]
	v_fma_f16 v25, v90, s5, v89
	v_fma_f16 v8, v90, s0, v89
	;; [unrolled: 1-line block ×3, first 2 shown]
	ds_read_u16 v87, v10 offset:136
	v_fma_f16 v25, v91, s6, v25
	v_fma_f16 v8, v91, s1, v8
	;; [unrolled: 1-line block ×5, first 2 shown]
	s_waitcnt vmcnt(1)
	v_mul_f16_sdwa v8, v68, v38 dst_sel:DWORD dst_unused:UNUSED_PAD src0_sel:DWORD src1_sel:WORD_1
	v_mul_f16_sdwa v36, v65, v39 dst_sel:DWORD dst_unused:UNUSED_PAD src0_sel:DWORD src1_sel:WORD_1
	;; [unrolled: 1-line block ×4, first 2 shown]
	v_fma_f16 v28, v91, s0, v93
	s_waitcnt lgkmcnt(6)
	v_fma_f16 v8, v75, v38, -v8
	ds_read_u16 v79, v10 offset:578
	s_waitcnt lgkmcnt(5)
	v_fma_f16 v36, v78, v39, -v36
	s_waitcnt lgkmcnt(3)
	v_fma_f16 v85, v77, v41, -v85
	;; [unrolled: 2-line block ×3, first 2 shown]
	v_mul_f16_sdwa v75, v75, v38 dst_sel:DWORD dst_unused:UNUSED_PAD src0_sel:DWORD src1_sel:WORD_1
	v_fma_f16 v28, v90, s6, v28
	v_sub_f16_e32 v37, v8, v36
	v_sub_f16_e32 v89, v85, v86
	v_fma_f16 v38, v68, v38, v75
	v_mul_f16_sdwa v68, v77, v41 dst_sel:DWORD dst_unused:UNUSED_PAD src0_sel:DWORD src1_sel:WORD_1
	v_mul_f16_sdwa v75, v78, v39 dst_sel:DWORD dst_unused:UNUSED_PAD src0_sel:DWORD src1_sel:WORD_1
	v_fma_f16 v28, v92, s4, v28
	v_add_f16_e32 v37, v37, v89
	v_add_f16_e32 v89, v36, v86
	v_fma_f16 v41, v69, v41, v68
	v_fma_f16 v39, v65, v39, v75
	v_mul_f16_sdwa v65, v84, v40 dst_sel:DWORD dst_unused:UNUSED_PAD src0_sel:DWORD src1_sel:WORD_1
	v_sub_f16_e32 v91, v36, v8
	v_sub_f16_e32 v92, v86, v85
	ds_read_u16 v90, v10 offset:102
	s_waitcnt lgkmcnt(2)
	v_fma_f16 v89, v89, -0.5, v87
	v_sub_f16_e32 v68, v38, v41
	v_fma_f16 v40, v66, v40, v65
	v_add_f16_e32 v91, v91, v92
	v_add_f16_e32 v92, v8, v85
	v_fma_f16 v69, v68, s0, v89
	v_sub_f16_e32 v65, v39, v40
	v_fma_f16 v92, v92, -0.5, v87
	v_fma_f16 v66, v65, s1, v69
	v_sub_f16_e32 v69, v38, v39
	v_sub_f16_e32 v75, v41, v40
	v_fma_f16 v93, v65, s5, v92
	v_fma_f16 v92, v65, s0, v92
	v_add_f16_e32 v69, v69, v75
	v_add_f16_e32 v75, v39, v40
	v_fma_f16 v93, v68, s1, v93
	v_fma_f16 v92, v68, s6, v92
	;; [unrolled: 1-line block ×3, first 2 shown]
	v_fma_f16 v75, v75, -0.5, v64
	v_sub_f16_e32 v77, v8, v85
	v_fma_f16 v65, v65, s6, v68
	v_add_f16_e32 v8, v8, v87
	ds_read_u16 v87, v10 offset:68
	v_fma_f16 v66, v37, s4, v66
	v_fma_f16 v78, v77, s5, v75
	v_sub_f16_e32 v84, v36, v86
	v_fma_f16 v65, v37, s4, v65
	v_fma_f16 v37, v77, s0, v75
	v_add_f16_e32 v8, v36, v8
	v_fma_f16 v78, v84, s6, v78
	v_fma_f16 v37, v84, s1, v37
	v_add_f16_e32 v8, v86, v8
	;; [unrolled: 3-line block ×3, first 2 shown]
	v_add_f16_e32 v8, v64, v38
	v_sub_f16_e32 v94, v39, v38
	v_sub_f16_e32 v95, v40, v41
	v_add_f16_e32 v8, v8, v39
	v_add_f16_e32 v94, v94, v95
	;; [unrolled: 1-line block ×4, first 2 shown]
	v_fma_f16 v95, v95, -0.5, v64
	v_add_f16_e32 v64, v41, v8
	s_waitcnt vmcnt(0)
	v_mul_f16_sdwa v8, v63, v70 dst_sel:DWORD dst_unused:UNUSED_PAD src0_sel:DWORD src1_sel:WORD_1
	v_fma_f16 v40, v76, v70, -v8
	v_lshlrev_b32_e32 v8, 2, v11
	v_lshlrev_b64 v[36:37], 2, v[8:9]
	v_fma_f16 v93, v91, s4, v93
	v_add_co_u32_e32 v36, vcc, s8, v36
	v_addc_co_u32_e32 v37, vcc, v17, v37, vcc
	global_load_dwordx4 v[36:39], v[36:37], off offset:448
	v_fma_f16 v96, v84, s0, v95
	v_fma_f16 v91, v91, s4, v92
	;; [unrolled: 1-line block ×3, first 2 shown]
	v_mul_f16_sdwa v84, v60, v73 dst_sel:DWORD dst_unused:UNUSED_PAD src0_sel:DWORD src1_sel:WORD_1
	v_mul_f16_sdwa v8, v61, v71 dst_sel:DWORD dst_unused:UNUSED_PAD src0_sel:DWORD src1_sel:WORD_1
	v_fma_f16 v84, v43, v73, -v84
	v_mul_f16_sdwa v85, v62, v72 dst_sel:DWORD dst_unused:UNUSED_PAD src0_sel:DWORD src1_sel:WORD_1
	v_mul_f16_sdwa v43, v43, v73 dst_sel:DWORD dst_unused:UNUSED_PAD src0_sel:DWORD src1_sel:WORD_1
	v_fma_f16 v96, v77, s6, v96
	v_fma_f16 v92, v77, s1, v92
	ds_read_u16 v75, v10 offset:306
	ds_read_u16 v77, v10 offset:544
	s_waitcnt lgkmcnt(4)
	v_fma_f16 v8, v79, v71, -v8
	v_fma_f16 v85, v88, v72, -v85
	v_fma_f16 v43, v60, v73, v43
	v_mul_f16_sdwa v73, v79, v71 dst_sel:DWORD dst_unused:UNUSED_PAD src0_sel:DWORD src1_sel:WORD_1
	v_fma_f16 v96, v94, s4, v96
	v_fma_f16 v92, v94, s4, v92
	;; [unrolled: 1-line block ×3, first 2 shown]
	v_mul_f16_sdwa v71, v88, v72 dst_sel:DWORD dst_unused:UNUSED_PAD src0_sel:DWORD src1_sel:WORD_1
	v_sub_f16_e32 v89, v8, v40
	v_sub_f16_e32 v94, v85, v84
	;; [unrolled: 1-line block ×4, first 2 shown]
	v_mul_f16_sdwa v76, v76, v70 dst_sel:DWORD dst_unused:UNUSED_PAD src0_sel:DWORD src1_sel:WORD_1
	v_fma_f16 v62, v62, v72, v71
	v_add_f16_e32 v89, v89, v94
	v_add_f16_e32 v94, v40, v84
	;; [unrolled: 1-line block ×4, first 2 shown]
	v_fma_f16 v63, v63, v70, v76
	v_sub_f16_e32 v71, v61, v62
	s_waitcnt lgkmcnt(3)
	v_fma_f16 v94, v94, -0.5, v90
	v_fma_f16 v86, v86, -0.5, v90
	v_sub_f16_e32 v60, v63, v43
	v_sub_f16_e32 v72, v63, v61
	;; [unrolled: 1-line block ×4, first 2 shown]
	v_fma_f16 v95, v71, s5, v94
	v_fma_f16 v94, v71, s0, v94
	v_add_f16_e32 v40, v40, v90
	v_fma_f16 v70, v60, s0, v86
	v_add_f16_e32 v72, v72, v73
	v_add_f16_e32 v73, v61, v62
	v_sub_f16_e32 v88, v8, v85
	v_fma_f16 v95, v60, s1, v95
	v_fma_f16 v94, v60, s6, v94
	;; [unrolled: 1-line block ×3, first 2 shown]
	v_add_f16_e32 v8, v8, v40
	v_fma_f16 v70, v71, s1, v70
	v_fma_f16 v73, v73, -0.5, v59
	v_fma_f16 v60, v71, s6, v60
	v_add_f16_e32 v8, v85, v8
	v_fma_f16 v70, v41, s4, v70
	v_fma_f16 v79, v76, s5, v73
	;; [unrolled: 1-line block ×4, first 2 shown]
	v_add_f16_e32 v73, v84, v8
	v_add_f16_e32 v8, v59, v63
	;; [unrolled: 1-line block ×3, first 2 shown]
	v_sub_f16_e32 v97, v61, v63
	v_sub_f16_e32 v98, v62, v43
	v_add_f16_e32 v8, v8, v62
	v_fma_f16 v79, v88, s6, v79
	v_add_f16_e32 v97, v97, v98
	v_add_f16_e32 v98, v63, v43
	v_fma_f16 v41, v88, s1, v41
	v_add_f16_e32 v43, v43, v8
	v_lshlrev_b32_e32 v8, 2, v12
	v_fma_f16 v79, v72, s4, v79
	v_fma_f16 v72, v72, s4, v41
	v_lshlrev_b64 v[40:41], 2, v[8:9]
	v_fma_f16 v98, v98, -0.5, v59
	v_add_co_u32_e32 v40, vcc, s8, v40
	v_fma_f16 v95, v89, s4, v95
	v_fma_f16 v99, v88, s0, v98
	;; [unrolled: 1-line block ×4, first 2 shown]
	v_addc_co_u32_e32 v41, vcc, v17, v41, vcc
	v_fma_f16 v99, v76, s6, v99
	v_fma_f16 v94, v76, s1, v94
	global_load_dwordx4 v[59:62], v[40:41], off offset:448
	s_waitcnt vmcnt(1)
	v_mul_f16_sdwa v8, v58, v36 dst_sel:DWORD dst_unused:UNUSED_PAD src0_sel:DWORD src1_sel:WORD_1
	v_mul_f16_sdwa v40, v57, v37 dst_sel:DWORD dst_unused:UNUSED_PAD src0_sel:DWORD src1_sel:WORD_1
	v_mul_f16_sdwa v63, v56, v39 dst_sel:DWORD dst_unused:UNUSED_PAD src0_sel:DWORD src1_sel:WORD_1
	v_mul_f16_sdwa v76, v55, v38 dst_sel:DWORD dst_unused:UNUSED_PAD src0_sel:DWORD src1_sel:WORD_1
	ds_read_u16 v12, v10 offset:272
	s_waitcnt lgkmcnt(2)
	v_fma_f16 v8, v75, v36, -v8
	s_waitcnt lgkmcnt(1)
	v_fma_f16 v40, v77, v37, -v40
	v_fma_f16 v63, v44, v39, -v63
	;; [unrolled: 1-line block ×3, first 2 shown]
	v_mul_f16_sdwa v75, v75, v36 dst_sel:DWORD dst_unused:UNUSED_PAD src0_sel:DWORD src1_sel:WORD_1
	v_sub_f16_e32 v41, v8, v40
	v_sub_f16_e32 v84, v63, v76
	v_fma_f16 v58, v58, v36, v75
	v_mul_f16_sdwa v36, v44, v39 dst_sel:DWORD dst_unused:UNUSED_PAD src0_sel:DWORD src1_sel:WORD_1
	v_add_f16_e32 v41, v41, v84
	v_add_f16_e32 v84, v40, v76
	v_fma_f16 v44, v56, v39, v36
	v_mul_f16_sdwa v56, v77, v37 dst_sel:DWORD dst_unused:UNUSED_PAD src0_sel:DWORD src1_sel:WORD_1
	v_mul_f16_sdwa v27, v27, v38 dst_sel:DWORD dst_unused:UNUSED_PAD src0_sel:DWORD src1_sel:WORD_1
	v_fma_f16 v84, v84, -0.5, v87
	v_sub_f16_e32 v36, v58, v44
	v_fma_f16 v56, v57, v37, v56
	v_fma_f16 v27, v55, v38, v27
	v_fma_f16 v39, v36, s0, v84
	v_sub_f16_e32 v37, v56, v27
	v_fma_f16 v38, v37, s1, v39
	v_fma_f16 v55, v41, s4, v38
	v_sub_f16_e32 v38, v58, v56
	v_sub_f16_e32 v39, v44, v27
	v_add_f16_e32 v38, v38, v39
	v_add_f16_e32 v39, v56, v27
	v_fma_f16 v39, v39, -0.5, v54
	v_sub_f16_e32 v57, v8, v63
	v_fma_f16 v75, v57, s5, v39
	v_sub_f16_e32 v77, v40, v76
	v_fma_f16 v84, v36, s5, v84
	v_fma_f16 v39, v57, s0, v39
	;; [unrolled: 1-line block ×8, first 2 shown]
	v_sub_f16_e32 v38, v40, v8
	v_sub_f16_e32 v39, v76, v63
	v_add_f16_e32 v38, v38, v39
	v_add_f16_e32 v39, v8, v63
	v_fma_f16 v39, v39, -0.5, v87
	v_add_f16_e32 v8, v8, v87
	v_fma_f16 v85, v37, s5, v39
	v_fma_f16 v37, v37, s0, v39
	v_add_f16_e32 v8, v40, v8
	v_fma_f16 v85, v36, s1, v85
	v_fma_f16 v36, v36, s6, v37
	v_add_f16_e32 v8, v76, v8
	v_fma_f16 v86, v38, s4, v36
	v_add_f16_e32 v40, v63, v8
	v_sub_f16_e32 v8, v56, v58
	v_sub_f16_e32 v36, v27, v44
	v_add_f16_e32 v63, v8, v36
	v_add_f16_e32 v8, v58, v44
	v_fma_f16 v8, v8, -0.5, v54
	v_fma_f16 v36, v77, s0, v8
	v_fma_f16 v8, v77, s5, v8
	;; [unrolled: 1-line block ×4, first 2 shown]
	v_lshlrev_b32_e32 v8, 2, v4
	v_fma_f16 v76, v63, s4, v36
	v_lshlrev_b64 v[36:37], 2, v[8:9]
	v_fma_f16 v85, v38, s4, v85
	v_add_co_u32_e32 v36, vcc, s8, v36
	v_addc_co_u32_e32 v37, vcc, v17, v37, vcc
	global_load_dwordx4 v[36:39], v[36:37], off offset:448
	v_add_f16_e32 v8, v54, v58
	v_add_f16_e32 v8, v8, v56
	;; [unrolled: 1-line block ×4, first 2 shown]
	s_waitcnt vmcnt(1)
	v_mul_f16_sdwa v8, v53, v59 dst_sel:DWORD dst_unused:UNUSED_PAD src0_sel:DWORD src1_sel:WORD_1
	ds_read_u16 v10, v10 offset:34
	v_fma_f16 v17, v63, s4, v57
	s_waitcnt lgkmcnt(1)
	v_fma_f16 v8, v12, v59, -v8
	v_mul_f16_sdwa v44, v51, v60 dst_sel:DWORD dst_unused:UNUSED_PAD src0_sel:DWORD src1_sel:WORD_1
	v_mul_f16_sdwa v56, v52, v62 dst_sel:DWORD dst_unused:UNUSED_PAD src0_sel:DWORD src1_sel:WORD_1
	;; [unrolled: 1-line block ×4, first 2 shown]
	v_fma_f16 v44, v82, v60, -v44
	v_fma_f16 v56, v67, v62, -v56
	;; [unrolled: 1-line block ×3, first 2 shown]
	v_fma_f16 v12, v53, v59, v12
	v_mul_f16_sdwa v53, v67, v62 dst_sel:DWORD dst_unused:UNUSED_PAD src0_sel:DWORD src1_sel:WORD_1
	v_fma_f16 v52, v52, v62, v53
	v_mul_f16_sdwa v62, v82, v60 dst_sel:DWORD dst_unused:UNUSED_PAD src0_sel:DWORD src1_sel:WORD_1
	v_mul_f16_sdwa v29, v29, v61 dst_sel:DWORD dst_unused:UNUSED_PAD src0_sel:DWORD src1_sel:WORD_1
	v_sub_f16_e32 v77, v44, v8
	v_sub_f16_e32 v82, v57, v56
	;; [unrolled: 1-line block ×4, first 2 shown]
	v_fma_f16 v51, v51, v60, v62
	v_fma_f16 v29, v50, v61, v29
	v_add_f16_e32 v77, v77, v82
	v_add_f16_e32 v82, v8, v56
	;; [unrolled: 1-line block ×4, first 2 shown]
	v_sub_f16_e32 v50, v51, v29
	v_sub_f16_e32 v60, v12, v51
	;; [unrolled: 1-line block ×3, first 2 shown]
	s_waitcnt lgkmcnt(0)
	v_fma_f16 v82, v82, -0.5, v10
	v_fma_f16 v58, v58, -0.5, v10
	v_sub_f16_e32 v53, v12, v52
	v_add_f16_e32 v60, v60, v61
	v_add_f16_e32 v61, v51, v29
	v_sub_f16_e32 v62, v8, v56
	v_fma_f16 v87, v50, s5, v82
	v_sub_f16_e32 v88, v51, v12
	v_sub_f16_e32 v90, v29, v52
	v_fma_f16 v82, v50, s0, v82
	v_add_f16_e32 v8, v8, v10
	v_add_f16_e32 v10, v47, v12
	v_fma_f16 v59, v53, s0, v58
	v_fma_f16 v61, v61, -0.5, v47
	v_fma_f16 v87, v53, s1, v87
	v_add_f16_e32 v88, v88, v90
	v_add_f16_e32 v90, v12, v52
	v_fma_f16 v82, v53, s6, v82
	v_fma_f16 v53, v53, s5, v58
	v_add_f16_e32 v10, v10, v51
	v_fma_f16 v59, v50, s1, v59
	v_fma_f16 v63, v62, s5, v61
	v_sub_f16_e32 v67, v44, v57
	v_fma_f16 v90, v90, -0.5, v47
	v_fma_f16 v50, v50, s6, v53
	v_fma_f16 v53, v62, s0, v61
	v_add_f16_e32 v10, v10, v29
	v_fma_f16 v63, v67, s6, v63
	v_fma_f16 v53, v67, s1, v53
	;; [unrolled: 1-line block ×4, first 2 shown]
	v_add_f16_e32 v8, v44, v8
	v_add_f16_e32 v10, v52, v10
	v_fma_f16 v59, v54, s4, v59
	v_fma_f16 v50, v54, s4, v50
	;; [unrolled: 1-line block ×10, first 2 shown]
	v_add_f16_e32 v8, v57, v8
	v_add_co_u32_e32 v6, vcc, s2, v6
	s_waitcnt vmcnt(0)
	v_mul_f16_sdwa v12, v48, v36 dst_sel:DWORD dst_unused:UNUSED_PAD src0_sel:DWORD src1_sel:WORD_1
	v_mul_f16_sdwa v29, v45, v37 dst_sel:DWORD dst_unused:UNUSED_PAD src0_sel:DWORD src1_sel:WORD_1
	;; [unrolled: 1-line block ×4, first 2 shown]
	v_fma_f16 v12, v81, v36, -v12
	v_fma_f16 v29, v83, v37, -v29
	;; [unrolled: 1-line block ×4, first 2 shown]
	v_sub_f16_e32 v44, v12, v29
	v_sub_f16_e32 v52, v47, v51
	;; [unrolled: 1-line block ×4, first 2 shown]
	v_add_f16_e32 v44, v44, v52
	v_add_f16_e32 v52, v29, v51
	;; [unrolled: 1-line block ×4, first 2 shown]
	v_fma_f16 v52, v52, -0.5, v5
	v_mul_f16_sdwa v54, v81, v36 dst_sel:DWORD dst_unused:UNUSED_PAD src0_sel:DWORD src1_sel:WORD_1
	v_fma_f16 v60, v60, -0.5, v5
	v_add_f16_e32 v5, v12, v5
	v_fma_f16 v36, v48, v36, v54
	v_mul_f16_sdwa v48, v80, v39 dst_sel:DWORD dst_unused:UNUSED_PAD src0_sel:DWORD src1_sel:WORD_1
	v_add_f16_e32 v5, v29, v5
	v_fma_f16 v39, v49, v39, v48
	v_mul_f16_sdwa v54, v83, v37 dst_sel:DWORD dst_unused:UNUSED_PAD src0_sel:DWORD src1_sel:WORD_1
	v_mul_f16_sdwa v33, v33, v38 dst_sel:DWORD dst_unused:UNUSED_PAD src0_sel:DWORD src1_sel:WORD_1
	v_add_f16_e32 v5, v51, v5
	v_sub_f16_e32 v48, v36, v39
	v_fma_f16 v37, v45, v37, v54
	v_fma_f16 v33, v46, v38, v33
	v_sub_f16_e32 v54, v12, v47
	v_add_f16_e32 v12, v47, v5
	v_add_f16_e32 v5, v42, v36
	v_fma_f16 v49, v48, s0, v52
	v_sub_f16_e32 v38, v37, v33
	v_add_f16_e32 v5, v5, v37
	v_fma_f16 v45, v38, s1, v49
	v_sub_f16_e32 v46, v36, v37
	v_sub_f16_e32 v49, v39, v33
	v_fma_f16 v61, v38, s5, v60
	v_fma_f16 v60, v38, s0, v60
	v_add_f16_e32 v5, v5, v33
	v_add_f16_e32 v46, v46, v49
	;; [unrolled: 1-line block ×3, first 2 shown]
	v_sub_f16_e32 v57, v29, v51
	v_fma_f16 v61, v48, s1, v61
	v_sub_f16_e32 v62, v37, v36
	v_sub_f16_e32 v67, v33, v39
	v_fma_f16 v60, v48, s6, v60
	v_fma_f16 v48, v48, s5, v52
	v_add_f16_e32 v29, v39, v5
	v_mov_b32_e32 v5, v9
	v_fma_f16 v49, v49, -0.5, v42
	v_add_f16_e32 v62, v62, v67
	v_add_f16_e32 v67, v36, v39
	v_fma_f16 v38, v38, s6, v48
	v_mov_b32_e32 v33, s3
	v_lshlrev_b64 v[4:5], 2, v[4:5]
	v_fma_f16 v45, v44, s4, v45
	v_fma_f16 v67, v67, -0.5, v42
	v_fma_f16 v38, v44, s4, v38
	v_fma_f16 v44, v54, s0, v49
	v_addc_co_u32_e32 v7, vcc, v33, v7, vcc
	v_fma_f16 v61, v58, s4, v61
	v_fma_f16 v58, v58, s4, v60
	;; [unrolled: 1-line block ×4, first 2 shown]
	v_add_co_u32_e32 v4, vcc, v6, v4
	v_fma_f16 v80, v57, s0, v67
	v_fma_f16 v60, v54, s1, v60
	;; [unrolled: 1-line block ×3, first 2 shown]
	v_addc_co_u32_e32 v5, vcc, v7, v5, vcc
	v_pack_b32_f16 v6, v29, v12
	v_add_f16_e32 v8, v56, v8
	v_fma_f16 v56, v54, s5, v49
	v_fma_f16 v80, v54, s6, v80
	;; [unrolled: 1-line block ×3, first 2 shown]
	global_store_dword v[4:5], v6, off
	v_pack_b32_f16 v6, v44, v38
	v_fma_f16 v56, v57, s6, v56
	v_fma_f16 v80, v62, s4, v80
	global_store_dword v[4:5], v6, off offset:476
	v_pack_b32_f16 v6, v60, v58
	v_fma_f16 v56, v46, s4, v56
	global_store_dword v[4:5], v6, off offset:952
	v_pack_b32_f16 v6, v80, v61
	global_store_dword v[4:5], v6, off offset:1428
	v_pack_b32_f16 v6, v56, v45
	;; [unrolled: 2-line block ×3, first 2 shown]
	s_mov_b32 s0, 0x44d72045
	v_fma_f16 v82, v88, s4, v82
	global_store_dword v[4:5], v6, off offset:68
	v_pack_b32_f16 v6, v53, v50
	v_mul_hi_u32 v7, v11, s0
	v_fma_f16 v97, v88, s4, v97
	global_store_dword v[4:5], v6, off offset:544
	v_pack_b32_f16 v6, v82, v77
	global_store_dword v[4:5], v6, off offset:1020
	v_pack_b32_f16 v6, v97, v87
	global_store_dword v[4:5], v6, off offset:1496
	v_pack_b32_f16 v6, v63, v59
	global_store_dword v[4:5], v6, off offset:1972
	v_lshrrev_b32_e32 v6, 5, v7
	v_mul_u32_u24_e32 v8, 0x1dc, v6
	v_lshlrev_b64 v[6:7], 2, v[8:9]
	v_pack_b32_f16 v8, v27, v40
	v_add_co_u32_e32 v6, vcc, v4, v6
	v_addc_co_u32_e32 v7, vcc, v5, v7, vcc
	global_store_dword v[6:7], v8, off offset:136
	v_pack_b32_f16 v8, v84, v41
	v_mul_hi_u32 v10, v16, s0
	global_store_dword v[6:7], v8, off offset:612
	v_pack_b32_f16 v8, v17, v86
	global_store_dword v[6:7], v8, off offset:1088
	v_pack_b32_f16 v8, v76, v85
	global_store_dword v[6:7], v8, off offset:1564
	v_pack_b32_f16 v8, v75, v55
	global_store_dword v[6:7], v8, off offset:2040
	v_lshrrev_b32_e32 v6, 5, v10
	v_mul_u32_u24_e32 v8, 0x1dc, v6
	v_lshlrev_b64 v[6:7], 2, v[8:9]
	v_pack_b32_f16 v8, v43, v73
	v_add_co_u32_e32 v6, vcc, v4, v6
	v_addc_co_u32_e32 v7, vcc, v5, v7, vcc
	global_store_dword v[6:7], v8, off offset:204
	v_pack_b32_f16 v8, v72, v71
	v_mul_hi_u32 v10, v15, s0
	;; [unrolled: 16-line block ×4, first 2 shown]
	global_store_dword v[6:7], v8, off offset:816
	v_pack_b32_f16 v8, v35, v31
	global_store_dword v[6:7], v8, off offset:1292
	v_pack_b32_f16 v8, v28, v26
	;; [unrolled: 2-line block ×3, first 2 shown]
	global_store_dword v[6:7], v8, off offset:2244
	v_lshrrev_b32_e32 v6, 5, v10
	v_mul_u32_u24_e32 v8, 0x1dc, v6
	v_lshlrev_b64 v[6:7], 2, v[8:9]
	v_pack_b32_f16 v2, v3, v2
	v_add_co_u32_e32 v4, vcc, v4, v6
	v_addc_co_u32_e32 v5, vcc, v5, v7, vcc
	v_pack_b32_f16 v6, v20, v18
	global_store_dword v[4:5], v6, off offset:408
	v_pack_b32_f16 v6, v23, v22
	global_store_dword v[4:5], v2, off offset:1360
	v_pack_b32_f16 v2, v21, v19
	v_pack_b32_f16 v0, v1, v0
	global_store_dword v[4:5], v6, off offset:884
	global_store_dword v[4:5], v2, off offset:1836
	;; [unrolled: 1-line block ×3, first 2 shown]
.LBB0_20:
	s_endpgm
	.section	.rodata,"a",@progbits
	.p2align	6, 0x0
	.amdhsa_kernel fft_rtc_back_len595_factors_7_17_5_wgs_51_tpt_17_halfLds_half_ip_CI_unitstride_sbrr_dirReg
		.amdhsa_group_segment_fixed_size 0
		.amdhsa_private_segment_fixed_size 0
		.amdhsa_kernarg_size 88
		.amdhsa_user_sgpr_count 6
		.amdhsa_user_sgpr_private_segment_buffer 1
		.amdhsa_user_sgpr_dispatch_ptr 0
		.amdhsa_user_sgpr_queue_ptr 0
		.amdhsa_user_sgpr_kernarg_segment_ptr 1
		.amdhsa_user_sgpr_dispatch_id 0
		.amdhsa_user_sgpr_flat_scratch_init 0
		.amdhsa_user_sgpr_private_segment_size 0
		.amdhsa_uses_dynamic_stack 0
		.amdhsa_system_sgpr_private_segment_wavefront_offset 0
		.amdhsa_system_sgpr_workgroup_id_x 1
		.amdhsa_system_sgpr_workgroup_id_y 0
		.amdhsa_system_sgpr_workgroup_id_z 0
		.amdhsa_system_sgpr_workgroup_info 0
		.amdhsa_system_vgpr_workitem_id 0
		.amdhsa_next_free_vgpr 181
		.amdhsa_next_free_sgpr 32
		.amdhsa_reserve_vcc 1
		.amdhsa_reserve_flat_scratch 0
		.amdhsa_float_round_mode_32 0
		.amdhsa_float_round_mode_16_64 0
		.amdhsa_float_denorm_mode_32 3
		.amdhsa_float_denorm_mode_16_64 3
		.amdhsa_dx10_clamp 1
		.amdhsa_ieee_mode 1
		.amdhsa_fp16_overflow 0
		.amdhsa_exception_fp_ieee_invalid_op 0
		.amdhsa_exception_fp_denorm_src 0
		.amdhsa_exception_fp_ieee_div_zero 0
		.amdhsa_exception_fp_ieee_overflow 0
		.amdhsa_exception_fp_ieee_underflow 0
		.amdhsa_exception_fp_ieee_inexact 0
		.amdhsa_exception_int_div_zero 0
	.end_amdhsa_kernel
	.text
.Lfunc_end0:
	.size	fft_rtc_back_len595_factors_7_17_5_wgs_51_tpt_17_halfLds_half_ip_CI_unitstride_sbrr_dirReg, .Lfunc_end0-fft_rtc_back_len595_factors_7_17_5_wgs_51_tpt_17_halfLds_half_ip_CI_unitstride_sbrr_dirReg
                                        ; -- End function
	.section	.AMDGPU.csdata,"",@progbits
; Kernel info:
; codeLenInByte = 26752
; NumSgprs: 36
; NumVgprs: 181
; ScratchSize: 0
; MemoryBound: 0
; FloatMode: 240
; IeeeMode: 1
; LDSByteSize: 0 bytes/workgroup (compile time only)
; SGPRBlocks: 4
; VGPRBlocks: 45
; NumSGPRsForWavesPerEU: 36
; NumVGPRsForWavesPerEU: 181
; Occupancy: 1
; WaveLimiterHint : 1
; COMPUTE_PGM_RSRC2:SCRATCH_EN: 0
; COMPUTE_PGM_RSRC2:USER_SGPR: 6
; COMPUTE_PGM_RSRC2:TRAP_HANDLER: 0
; COMPUTE_PGM_RSRC2:TGID_X_EN: 1
; COMPUTE_PGM_RSRC2:TGID_Y_EN: 0
; COMPUTE_PGM_RSRC2:TGID_Z_EN: 0
; COMPUTE_PGM_RSRC2:TIDIG_COMP_CNT: 0
	.type	__hip_cuid_fc900c70005a3aaa,@object ; @__hip_cuid_fc900c70005a3aaa
	.section	.bss,"aw",@nobits
	.globl	__hip_cuid_fc900c70005a3aaa
__hip_cuid_fc900c70005a3aaa:
	.byte	0                               ; 0x0
	.size	__hip_cuid_fc900c70005a3aaa, 1

	.ident	"AMD clang version 19.0.0git (https://github.com/RadeonOpenCompute/llvm-project roc-6.4.0 25133 c7fe45cf4b819c5991fe208aaa96edf142730f1d)"
	.section	".note.GNU-stack","",@progbits
	.addrsig
	.addrsig_sym __hip_cuid_fc900c70005a3aaa
	.amdgpu_metadata
---
amdhsa.kernels:
  - .args:
      - .actual_access:  read_only
        .address_space:  global
        .offset:         0
        .size:           8
        .value_kind:     global_buffer
      - .offset:         8
        .size:           8
        .value_kind:     by_value
      - .actual_access:  read_only
        .address_space:  global
        .offset:         16
        .size:           8
        .value_kind:     global_buffer
      - .actual_access:  read_only
        .address_space:  global
        .offset:         24
        .size:           8
        .value_kind:     global_buffer
      - .offset:         32
        .size:           8
        .value_kind:     by_value
      - .actual_access:  read_only
        .address_space:  global
        .offset:         40
        .size:           8
        .value_kind:     global_buffer
      - .actual_access:  read_only
        .address_space:  global
        .offset:         48
        .size:           8
        .value_kind:     global_buffer
      - .offset:         56
        .size:           4
        .value_kind:     by_value
      - .actual_access:  read_only
        .address_space:  global
        .offset:         64
        .size:           8
        .value_kind:     global_buffer
      - .actual_access:  read_only
        .address_space:  global
        .offset:         72
        .size:           8
        .value_kind:     global_buffer
      - .address_space:  global
        .offset:         80
        .size:           8
        .value_kind:     global_buffer
    .group_segment_fixed_size: 0
    .kernarg_segment_align: 8
    .kernarg_segment_size: 88
    .language:       OpenCL C
    .language_version:
      - 2
      - 0
    .max_flat_workgroup_size: 51
    .name:           fft_rtc_back_len595_factors_7_17_5_wgs_51_tpt_17_halfLds_half_ip_CI_unitstride_sbrr_dirReg
    .private_segment_fixed_size: 0
    .sgpr_count:     36
    .sgpr_spill_count: 0
    .symbol:         fft_rtc_back_len595_factors_7_17_5_wgs_51_tpt_17_halfLds_half_ip_CI_unitstride_sbrr_dirReg.kd
    .uniform_work_group_size: 1
    .uses_dynamic_stack: false
    .vgpr_count:     181
    .vgpr_spill_count: 0
    .wavefront_size: 64
amdhsa.target:   amdgcn-amd-amdhsa--gfx906
amdhsa.version:
  - 1
  - 2
...

	.end_amdgpu_metadata
